;; amdgpu-corpus repo=ggml-org/llama.cpp kind=compiled arch=gfx950 opt=O3
	.amdgcn_target "amdgcn-amd-amdhsa--gfx950"
	.amdhsa_code_object_version 6
	.section	.text._ZL12ssm_conv_f32ILb1ELm128ELm3EEvPKfS1_S1_iiiiPfiiil,"axG",@progbits,_ZL12ssm_conv_f32ILb1ELm128ELm3EEvPKfS1_S1_iiiiPfiiil,comdat
	.globl	_ZL12ssm_conv_f32ILb1ELm128ELm3EEvPKfS1_S1_iiiiPfiiil ; -- Begin function _ZL12ssm_conv_f32ILb1ELm128ELm3EEvPKfS1_S1_iiiiPfiiil
	.p2align	8
	.type	_ZL12ssm_conv_f32ILb1ELm128ELm3EEvPKfS1_S1_iiiiPfiiil,@function
_ZL12ssm_conv_f32ILb1ELm128ELm3EEvPKfS1_S1_iiiiPfiiil: ; @_ZL12ssm_conv_f32ILb1ELm128ELm3EEvPKfS1_S1_iiiiPfiiil
; %bb.0:
	s_load_dwordx4 s[12:15], s[0:1], 0x1c
	s_load_dwordx4 s[4:7], s[0:1], 0x0
	s_load_dwordx2 s[10:11], s[0:1], 0x10
	s_mov_b32 s8, s3
	s_ashr_i32 s9, s3, 31
	s_lshl_b64 s[16:17], s[8:9], 7
	s_waitcnt lgkmcnt(0)
	s_ashr_i32 s3, s14, 31
	s_mul_i32 s3, s16, s3
	s_mul_hi_u32 s15, s16, s14
	s_lshr_b64 s[8:9], s[8:9], 25
	s_add_i32 s3, s15, s3
	s_mul_i32 s8, s8, s14
	s_add_i32 s3, s3, s8
	s_mul_i32 s8, s16, s14
	s_add_u32 s8, s6, s8
	s_addc_u32 s9, s7, s3
	s_cmp_eq_u64 s[10:11], 0
	v_lshlrev_b32_e32 v10, 2, v0
	s_cbranch_scc1 .LBB0_2
; %bb.1:
	s_lshl_b64 s[6:7], s[16:17], 2
	s_add_u32 s6, s10, s6
	s_addc_u32 s7, s11, s7
	global_load_dword v9, v10, s[6:7]
	s_load_dwordx2 s[6:7], s[0:1], 0x40
	s_waitcnt lgkmcnt(0)
	v_cmp_lt_i64_e64 s[10:11], s[6:7], 1
	s_and_b64 vcc, exec, s[10:11]
	s_cbranch_vccz .LBB0_3
	s_branch .LBB0_6
.LBB0_2:
	v_mov_b32_e32 v9, 0
	s_load_dwordx2 s[6:7], s[0:1], 0x40
	s_waitcnt lgkmcnt(0)
	v_cmp_lt_i64_e64 s[10:11], s[6:7], 1
	s_and_b64 vcc, exec, s[10:11]
	s_cbranch_vccnz .LBB0_6
.LBB0_3:
	s_ashr_i32 s3, s14, 2
	v_mul_lo_u32 v2, s3, v0
	v_ashrrev_i32_e32 v3, 31, v2
	v_lshl_add_u64 v[2:3], v[2:3], 2, s[8:9]
	global_load_dwordx3 v[2:4], v[2:3], off
	s_load_dwordx2 s[14:15], s[0:1], 0x28
	s_load_dwordx4 s[8:11], s[0:1], 0x30
	s_ashr_i32 s1, s12, 31
	s_waitcnt lgkmcnt(0)
	s_mul_hi_u32 s11, s16, s12
	s_mul_i32 s1, s16, s1
	s_add_i32 s1, s11, s1
	s_mul_i32 s11, s17, s12
	s_mul_i32 s0, s13, s2
	s_add_i32 s11, s1, s11
	s_mul_i32 s1, s10, s2
	s_ashr_i32 s3, s0, 31
	s_ashr_i32 s2, s1, 31
	s_add_u32 s18, s14, s1
	s_addc_u32 s19, s15, s2
	s_ashr_i32 s10, s8, 31
	s_mul_hi_u32 s20, s16, s8
	s_mul_i32 s10, s16, s10
	s_add_i32 s10, s20, s10
	s_mul_i32 s17, s17, s8
	s_add_i32 s10, s10, s17
	s_mul_i32 s8, s16, s8
	s_add_u32 s20, s18, s8
	s_addc_u32 s21, s19, s10
	s_mul_i32 s13, s16, s12
	s_add_u32 s16, s4, s0
	s_addc_u32 s17, s5, s3
	s_add_u32 s16, s16, s13
	s_addc_u32 s17, s17, s11
	s_ashr_i32 s12, s12, 2
	v_mul_lo_u32 v12, s12, v0
	v_ashrrev_i32_e32 v13, 31, v12
	v_lshl_add_u64 v[0:1], v[12:13], 2, s[16:17]
	global_load_dwordx3 v[6:8], v[0:1], off
	s_mov_b32 s16, 0xbfb8aa3b
	s_mov_b32 s17, 0x42ce8ed0
	;; [unrolled: 1-line block ×3, first 2 shown]
	s_cmp_eq_u64 s[6:7], 1
	s_waitcnt vmcnt(1)
	v_mov_b32_e32 v0, v3
	v_mov_b32_e32 v1, v4
	s_waitcnt vmcnt(0)
	v_mov_b32_e32 v4, v7
	v_mov_b32_e32 v5, v8
	v_fma_f32 v3, v2, v6, 0
	v_pk_mul_f32 v[4:5], v[0:1], v[4:5]
	s_nop 0
	v_add_f32_e32 v3, v3, v4
	v_add_f32_e32 v3, v3, v5
	v_add_f32_e32 v4, v9, v3
	v_mul_f32_e32 v3, 0xbfb8aa3b, v4
	v_fma_f32 v5, v4, s16, -v3
	v_rndne_f32_e32 v11, v3
	v_fmac_f32_e32 v5, 0xb2a5705f, v4
	v_sub_f32_e32 v3, v3, v11
	v_add_f32_e32 v3, v3, v5
	v_cvt_i32_f32_e32 v11, v11
	v_exp_f32_e32 v5, v3
	v_cmp_nlt_f32_e32 vcc, s17, v4
	v_mov_b32_e32 v3, 0x7f800000
	v_ldexp_f32 v5, v5, v11
	v_cndmask_b32_e32 v5, 0, v5, vcc
	v_cmp_ngt_f32_e32 vcc, s18, v4
	v_mov_b32_e32 v11, 0
	s_nop 0
	v_cndmask_b32_e32 v5, v3, v5, vcc
	v_add_f32_e32 v5, 1.0, v5
	v_div_scale_f32 v14, s[22:23], v5, v5, v4
	v_rcp_f32_e32 v15, v14
	v_div_scale_f32 v16, vcc, v4, v5, v4
	v_fma_f32 v17, -v14, v15, 1.0
	v_fmac_f32_e32 v15, v17, v15
	v_mul_f32_e32 v17, v16, v15
	v_fma_f32 v18, -v14, v17, v16
	v_fmac_f32_e32 v17, v18, v15
	v_fma_f32 v14, -v14, v17, v16
	v_div_fmas_f32 v14, v14, v15, v17
	v_div_fixup_f32 v4, v14, v5, v4
	global_store_dword v10, v4, s[20:21]
	s_cbranch_scc1 .LBB0_6
; %bb.4:
	s_ashr_i32 s20, s9, 2
	s_ashr_i32 s21, s20, 31
	s_add_u32 s6, s6, -1
	s_addc_u32 s7, s7, -1
	s_add_u32 s0, s4, s0
	s_addc_u32 s3, s5, s3
	s_add_u32 s4, s0, s13
	s_addc_u32 s5, s3, s11
	v_lshl_add_u64 v[4:5], v[12:13], 2, s[4:5]
	s_lshl_b64 s[4:5], s[20:21], 2
	s_add_u32 s0, s8, s4
	s_addc_u32 s3, s10, s5
	s_add_u32 s1, s14, s1
	s_addc_u32 s2, s15, s2
	;; [unrolled: 2-line block ×3, first 2 shown]
	v_lshl_add_u64 v[4:5], v[4:5], 0, 12
	v_lshl_add_u64 v[10:11], s[0:1], 0, v[10:11]
	s_mov_b64 s[8:9], 1
	s_mov_b64 s[10:11], 3
	;; [unrolled: 1-line block ×4, first 2 shown]
.LBB0_5:                                ; =>This Inner Loop Header: Depth=1
	global_load_dword v12, v[4:5], off
	s_mul_i32 s3, s9, 0xaaaaaaab
	s_mul_hi_u32 s19, s8, 0xaaaaaaab
	s_mul_hi_u32 s2, s9, 0xaaaaaaab
	s_add_u32 s3, s3, s19
	s_mul_i32 s1, s8, 0xaaaaaaaa
	s_addc_u32 s2, s2, 0
	s_mul_hi_u32 s0, s8, 0xaaaaaaaa
	s_add_u32 s1, s1, s3
	s_addc_u32 s0, s0, 0
	s_add_u32 s0, s2, s0
	s_mul_i32 s21, s9, 0xaaaaaaaa
	s_addc_u32 s1, 0, 0
	s_mul_hi_u32 s20, s9, 0xaaaaaaaa
	s_add_u32 s0, s21, s0
	s_addc_u32 s1, s20, s1
	s_lshr_b64 s[0:1], s[0:1], 1
	s_mul_i32 s0, s0, 3
	s_mul_i32 s25, s11, 0xaaaaaaab
	s_mul_hi_u32 s26, s10, 0xaaaaaaab
	s_sub_i32 s19, s8, s0
	s_mul_hi_u32 s24, s11, 0xaaaaaaab
	s_add_u32 s0, s25, s26
	s_mul_i32 s23, s10, 0xaaaaaaaa
	s_addc_u32 s1, s24, 0
	s_mul_hi_u32 s22, s10, 0xaaaaaaaa
	s_add_u32 s0, s23, s0
	s_addc_u32 s0, s22, 0
	s_add_u32 s0, s1, s0
	s_mul_i32 s28, s11, 0xaaaaaaaa
	s_addc_u32 s1, 0, 0
	s_mul_hi_u32 s27, s11, 0xaaaaaaaa
	s_add_u32 s0, s28, s0
	s_addc_u32 s1, s27, s1
	s_lshr_b64 s[0:1], s[0:1], 1
	s_mul_i32 s0, s0, 3
	s_mul_i32 s33, s13, 0xaaaaaaab
	s_mul_hi_u32 s34, s12, 0xaaaaaaab
	s_sub_i32 s20, s10, s0
	;; [unrolled: 18-line block ×3, first 2 shown]
	s_mul_hi_u32 s39, s15, 0xaaaaaaab
	s_add_u32 s0, s40, s41
	s_mul_i32 s38, s14, 0xaaaaaaaa
	s_addc_u32 s1, s39, 0
	s_mul_hi_u32 s37, s14, 0xaaaaaaaa
	s_add_u32 s0, s38, s0
	s_addc_u32 s0, s37, 0
	s_add_u32 s0, s1, s0
	s_mul_i32 s43, s15, 0xaaaaaaaa
	s_addc_u32 s1, 0, 0
	s_mul_hi_u32 s42, s15, 0xaaaaaaaa
	s_add_u32 s0, s43, s0
	s_addc_u32 s1, s42, s1
	s_lshr_b64 s[0:1], s[0:1], 1
	s_mul_i32 s0, s0, 3
	s_sub_i32 s2, s14, s0
	s_cmp_eq_u32 s2, 2
	s_cselect_b64 vcc, -1, 0
	s_cmp_eq_u32 s2, 1
	s_cselect_b64 s[0:1], -1, 0
	s_cmp_eq_u32 s2, 0
	s_cselect_b64 s[2:3], -1, 0
	s_cmp_eq_u32 s19, 1
	s_waitcnt vmcnt(0)
	v_cndmask_b32_e32 v8, v8, v12, vcc
	v_cndmask_b32_e64 v7, v7, v12, s[0:1]
	v_cndmask_b32_e64 v6, v6, v12, s[2:3]
	s_cselect_b64 vcc, -1, 0
	s_cmp_eq_u32 s19, 2
	v_cndmask_b32_e32 v12, v6, v7, vcc
	s_cselect_b64 vcc, -1, 0
	s_add_u32 s8, s8, 1
	s_addc_u32 s9, s9, 0
	s_cmp_eq_u32 s21, 1
	v_cndmask_b32_e32 v12, v12, v8, vcc
	s_cselect_b64 vcc, -1, 0
	s_cmp_eq_u32 s21, 2
	v_fma_f32 v14, v2, v12, 0
	v_cndmask_b32_e32 v12, v6, v7, vcc
	s_cselect_b64 vcc, -1, 0
	s_cmp_eq_u32 s20, 1
	v_cndmask_b32_e32 v12, v12, v8, vcc
	s_cselect_b64 vcc, -1, 0
	s_cmp_eq_u32 s20, 2
	v_cndmask_b32_e32 v13, v6, v7, vcc
	s_cselect_b64 vcc, -1, 0
	v_cndmask_b32_e32 v13, v13, v8, vcc
	v_pk_mul_f32 v[12:13], v[0:1], v[12:13]
	s_add_u32 s10, s10, 1
	v_add_f32_e32 v12, v14, v12
	v_add_f32_e32 v12, v12, v13
	v_add_f32_e32 v12, v9, v12
	v_mul_f32_e32 v13, 0xbfb8aa3b, v12
	v_fma_f32 v14, v12, s16, -v13
	v_rndne_f32_e32 v15, v13
	v_fmac_f32_e32 v14, 0xb2a5705f, v12
	v_sub_f32_e32 v13, v13, v15
	v_add_f32_e32 v13, v13, v14
	v_cvt_i32_f32_e32 v15, v15
	v_exp_f32_e32 v13, v13
	v_cmp_nlt_f32_e32 vcc, s17, v12
	s_addc_u32 s11, s11, 0
	s_add_u32 s6, s6, -1
	v_ldexp_f32 v13, v13, v15
	v_cndmask_b32_e32 v13, 0, v13, vcc
	v_cmp_ngt_f32_e32 vcc, s18, v12
	s_addc_u32 s7, s7, -1
	s_add_u32 s12, s12, 1
	v_cndmask_b32_e32 v13, v3, v13, vcc
	v_add_f32_e32 v13, 1.0, v13
	v_div_scale_f32 v14, s[0:1], v13, v13, v12
	v_rcp_f32_e32 v15, v14
	v_div_scale_f32 v16, vcc, v12, v13, v12
	s_addc_u32 s13, s13, 0
	v_fma_f32 v17, -v14, v15, 1.0
	v_fmac_f32_e32 v15, v17, v15
	v_mul_f32_e32 v17, v16, v15
	v_fma_f32 v18, -v14, v17, v16
	v_fmac_f32_e32 v17, v18, v15
	v_fma_f32 v14, -v14, v17, v16
	s_add_u32 s14, s14, 1
	v_div_fmas_f32 v14, v14, v15, v17
	s_addc_u32 s15, s15, 0
	v_div_fixup_f32 v12, v14, v13, v12
	v_lshl_add_u64 v[4:5], v[4:5], 0, 4
	s_cmp_eq_u64 s[6:7], 0
	global_store_dword v[10:11], v12, off
	v_lshl_add_u64 v[10:11], v[10:11], 0, s[4:5]
	s_cbranch_scc0 .LBB0_5
.LBB0_6:
	s_endpgm
	.section	.rodata,"a",@progbits
	.p2align	6, 0x0
	.amdhsa_kernel _ZL12ssm_conv_f32ILb1ELm128ELm3EEvPKfS1_S1_iiiiPfiiil
		.amdhsa_group_segment_fixed_size 0
		.amdhsa_private_segment_fixed_size 0
		.amdhsa_kernarg_size 72
		.amdhsa_user_sgpr_count 2
		.amdhsa_user_sgpr_dispatch_ptr 0
		.amdhsa_user_sgpr_queue_ptr 0
		.amdhsa_user_sgpr_kernarg_segment_ptr 1
		.amdhsa_user_sgpr_dispatch_id 0
		.amdhsa_user_sgpr_kernarg_preload_length 0
		.amdhsa_user_sgpr_kernarg_preload_offset 0
		.amdhsa_user_sgpr_private_segment_size 0
		.amdhsa_uses_dynamic_stack 0
		.amdhsa_enable_private_segment 0
		.amdhsa_system_sgpr_workgroup_id_x 1
		.amdhsa_system_sgpr_workgroup_id_y 1
		.amdhsa_system_sgpr_workgroup_id_z 0
		.amdhsa_system_sgpr_workgroup_info 0
		.amdhsa_system_vgpr_workitem_id 0
		.amdhsa_next_free_vgpr 19
		.amdhsa_next_free_sgpr 44
		.amdhsa_accum_offset 20
		.amdhsa_reserve_vcc 1
		.amdhsa_float_round_mode_32 0
		.amdhsa_float_round_mode_16_64 0
		.amdhsa_float_denorm_mode_32 3
		.amdhsa_float_denorm_mode_16_64 3
		.amdhsa_dx10_clamp 1
		.amdhsa_ieee_mode 1
		.amdhsa_fp16_overflow 0
		.amdhsa_tg_split 0
		.amdhsa_exception_fp_ieee_invalid_op 0
		.amdhsa_exception_fp_denorm_src 0
		.amdhsa_exception_fp_ieee_div_zero 0
		.amdhsa_exception_fp_ieee_overflow 0
		.amdhsa_exception_fp_ieee_underflow 0
		.amdhsa_exception_fp_ieee_inexact 0
		.amdhsa_exception_int_div_zero 0
	.end_amdhsa_kernel
	.section	.text._ZL12ssm_conv_f32ILb1ELm128ELm3EEvPKfS1_S1_iiiiPfiiil,"axG",@progbits,_ZL12ssm_conv_f32ILb1ELm128ELm3EEvPKfS1_S1_iiiiPfiiil,comdat
.Lfunc_end0:
	.size	_ZL12ssm_conv_f32ILb1ELm128ELm3EEvPKfS1_S1_iiiiPfiiil, .Lfunc_end0-_ZL12ssm_conv_f32ILb1ELm128ELm3EEvPKfS1_S1_iiiiPfiiil
                                        ; -- End function
	.set _ZL12ssm_conv_f32ILb1ELm128ELm3EEvPKfS1_S1_iiiiPfiiil.num_vgpr, 19
	.set _ZL12ssm_conv_f32ILb1ELm128ELm3EEvPKfS1_S1_iiiiPfiiil.num_agpr, 0
	.set _ZL12ssm_conv_f32ILb1ELm128ELm3EEvPKfS1_S1_iiiiPfiiil.numbered_sgpr, 44
	.set _ZL12ssm_conv_f32ILb1ELm128ELm3EEvPKfS1_S1_iiiiPfiiil.num_named_barrier, 0
	.set _ZL12ssm_conv_f32ILb1ELm128ELm3EEvPKfS1_S1_iiiiPfiiil.private_seg_size, 0
	.set _ZL12ssm_conv_f32ILb1ELm128ELm3EEvPKfS1_S1_iiiiPfiiil.uses_vcc, 1
	.set _ZL12ssm_conv_f32ILb1ELm128ELm3EEvPKfS1_S1_iiiiPfiiil.uses_flat_scratch, 0
	.set _ZL12ssm_conv_f32ILb1ELm128ELm3EEvPKfS1_S1_iiiiPfiiil.has_dyn_sized_stack, 0
	.set _ZL12ssm_conv_f32ILb1ELm128ELm3EEvPKfS1_S1_iiiiPfiiil.has_recursion, 0
	.set _ZL12ssm_conv_f32ILb1ELm128ELm3EEvPKfS1_S1_iiiiPfiiil.has_indirect_call, 0
	.section	.AMDGPU.csdata,"",@progbits
; Kernel info:
; codeLenInByte = 1496
; TotalNumSgprs: 50
; NumVgprs: 19
; NumAgprs: 0
; TotalNumVgprs: 19
; ScratchSize: 0
; MemoryBound: 0
; FloatMode: 240
; IeeeMode: 1
; LDSByteSize: 0 bytes/workgroup (compile time only)
; SGPRBlocks: 6
; VGPRBlocks: 2
; NumSGPRsForWavesPerEU: 50
; NumVGPRsForWavesPerEU: 19
; AccumOffset: 20
; Occupancy: 8
; WaveLimiterHint : 0
; COMPUTE_PGM_RSRC2:SCRATCH_EN: 0
; COMPUTE_PGM_RSRC2:USER_SGPR: 2
; COMPUTE_PGM_RSRC2:TRAP_HANDLER: 0
; COMPUTE_PGM_RSRC2:TGID_X_EN: 1
; COMPUTE_PGM_RSRC2:TGID_Y_EN: 1
; COMPUTE_PGM_RSRC2:TGID_Z_EN: 0
; COMPUTE_PGM_RSRC2:TIDIG_COMP_CNT: 0
; COMPUTE_PGM_RSRC3_GFX90A:ACCUM_OFFSET: 4
; COMPUTE_PGM_RSRC3_GFX90A:TG_SPLIT: 0
	.section	.text._ZL23ssm_conv_long_token_f32ILb1ELm128ELm3ELl32EEvPKfS1_S1_iiiiPfiiil,"axG",@progbits,_ZL23ssm_conv_long_token_f32ILb1ELm128ELm3ELl32EEvPKfS1_S1_iiiiPfiiil,comdat
	.globl	_ZL23ssm_conv_long_token_f32ILb1ELm128ELm3ELl32EEvPKfS1_S1_iiiiPfiiil ; -- Begin function _ZL23ssm_conv_long_token_f32ILb1ELm128ELm3ELl32EEvPKfS1_S1_iiiiPfiiil
	.p2align	8
	.type	_ZL23ssm_conv_long_token_f32ILb1ELm128ELm3ELl32EEvPKfS1_S1_iiiiPfiiil,@function
_ZL23ssm_conv_long_token_f32ILb1ELm128ELm3ELl32EEvPKfS1_S1_iiiiPfiiil: ; @_ZL23ssm_conv_long_token_f32ILb1ELm128ELm3ELl32EEvPKfS1_S1_iiiiPfiiil
; %bb.0:
	s_load_dwordx4 s[8:11], s[0:1], 0x18
	s_load_dwordx2 s[12:13], s[0:1], 0x0
	s_mov_b32 s6, s3
	v_mul_u32_u24_e32 v1, 0x788, v0
	v_lshrrev_b32_e32 v1, 16, v1
	s_waitcnt lgkmcnt(0)
	s_mul_i32 s3, s10, s2
	s_ashr_i32 s5, s3, 31
	s_add_u32 s3, s12, s3
	s_addc_u32 s5, s13, s5
	s_ashr_i32 s7, s6, 31
	s_lshl_b64 s[12:13], s[6:7], 7
	s_ashr_i32 s10, s9, 31
	s_mul_i32 s10, s12, s10
	s_mul_hi_u32 s14, s12, s9
	s_lshr_b64 s[6:7], s[6:7], 25
	s_add_i32 s10, s14, s10
	s_mul_i32 s6, s6, s9
	s_add_i32 s10, s10, s6
	s_mul_i32 s6, s12, s9
	s_add_u32 s3, s3, s6
	s_addc_u32 s6, s5, s10
	s_ashr_i32 s5, s4, 31
	s_lshl_b64 s[14:15], s[4:5], 5
	s_ashr_i32 s7, s8, 31
	s_mul_i32 s7, s14, s7
	s_mul_hi_u32 s10, s14, s8
	s_lshr_b64 s[4:5], s[4:5], 27
	s_add_i32 s7, s10, s7
	s_mul_i32 s4, s4, s8
	s_add_i32 s7, s7, s4
	s_mul_i32 s4, s14, s8
	s_add_u32 s16, s3, s4
	v_mul_lo_u16_e32 v2, 34, v1
	s_addc_u32 s17, s6, s7
	s_ashr_i32 s3, s9, 2
	v_sub_u16_e32 v2, v0, v2
	v_mad_u64_u32 v[4:5], s[4:5], s3, v1, v[2:3]
	v_ashrrev_i32_e32 v5, 31, v4
	v_lshl_add_u64 v[4:5], v[4:5], 2, s[16:17]
	global_load_dword v13, v[4:5], off
	v_or_b32_e32 v3, 0x80, v2
	v_mul_lo_u16_e32 v4, 0xf1, v3
	v_lshrrev_b16_e32 v4, 13, v4
	v_add_u32_e32 v22, v1, v4
	v_mul_lo_u16_e32 v4, 34, v4
	v_sub_u16_e32 v3, v3, v4
	v_and_b32_e32 v8, 0xff, v3
	v_or_b32_e32 v3, 0x80, v8
	v_mul_lo_u16_e32 v6, 0xf1, v3
	v_lshrrev_b16_e32 v6, 13, v6
	v_add_u32_e32 v23, v22, v6
	v_mul_lo_u16_e32 v6, 34, v6
	v_sub_u16_e32 v3, v3, v6
	v_and_b32_e32 v10, 0xff, v3
	v_or_b32_e32 v3, 0x80, v10
	v_mad_u64_u32 v[4:5], s[4:5], v22, s3, v[8:9]
	v_mul_lo_u16_e32 v9, 0xf1, v3
	v_lshrrev_b16_e32 v9, 13, v9
	v_add_u32_e32 v24, v23, v9
	v_mul_lo_u16_e32 v9, 34, v9
	v_sub_u16_e32 v3, v3, v9
	v_and_b32_e32 v12, 0xff, v3
	v_ashrrev_i32_e32 v5, 31, v4
	v_mad_u64_u32 v[6:7], s[4:5], v23, s3, v[10:11]
	v_lshl_add_u64 v[4:5], v[4:5], 2, s[16:17]
	v_ashrrev_i32_e32 v7, 31, v6
	v_or_b32_e32 v3, 0x80, v12
	v_lshl_add_u64 v[6:7], v[6:7], 2, s[16:17]
	v_mul_u32_u24_e32 v1, 0x88, v1
	v_lshlrev_b32_e32 v2, 2, v2
	v_add3_u32 v29, 0, v1, v2
	v_lshlrev_b32_e32 v8, 2, v8
	v_lshlrev_b32_e32 v10, 2, v10
	s_movk_i32 s7, 0x88
	s_movk_i32 s6, 0x80
	s_waitcnt vmcnt(0)
	v_mad_u64_u32 v[14:15], s[4:5], v24, s3, v[12:13]
	v_ashrrev_i32_e32 v15, 31, v14
	v_lshl_add_u64 v[14:15], v[14:15], 2, s[16:17]
	global_load_dword v25, v[4:5], off
	global_load_dword v26, v[6:7], off
	;; [unrolled: 1-line block ×3, first 2 shown]
	v_mul_lo_u16_e32 v4, 0xf1, v3
	v_lshrrev_b16_e32 v4, 13, v4
	v_add_u32_e32 v15, v24, v4
	v_mul_lo_u16_e32 v4, 34, v4
	v_sub_u16_e32 v3, v3, v4
	v_and_b32_e32 v14, 0xff, v3
	v_or_b32_e32 v2, 0x80, v14
	v_mul_lo_u16_e32 v1, 0xf1, v2
	v_lshrrev_b16_e32 v3, 13, v1
	v_mad_u64_u32 v[4:5], s[4:5], v15, s3, v[14:15]
	v_add_u32_e32 v1, v15, v3
	v_mul_lo_u16_e32 v3, 34, v3
	v_ashrrev_i32_e32 v5, 31, v4
	v_sub_u16_e32 v2, v2, v3
	v_lshl_add_u64 v[4:5], v[4:5], 2, s[16:17]
	v_and_b32_e32 v2, 0xff, v2
	global_load_dword v28, v[4:5], off
	v_mad_u64_u32 v[4:5], s[4:5], v1, s3, v[2:3]
	v_ashrrev_i32_e32 v5, 31, v4
	v_lshl_add_u64 v[16:17], v[4:5], 2, s[16:17]
	v_or_b32_e32 v4, 0x80, v2
	v_mul_lo_u16_e32 v3, 0xf1, v4
	v_lshrrev_b16_e32 v5, 13, v3
	v_add_u32_e32 v3, v1, v5
	v_mul_lo_u16_e32 v5, 34, v5
	v_sub_u16_e32 v4, v4, v5
	v_and_b32_e32 v4, 0xff, v4
	v_mad_u64_u32 v[6:7], s[4:5], v3, s3, v[4:5]
	v_ashrrev_i32_e32 v7, 31, v6
	v_lshl_add_u64 v[18:19], v[6:7], 2, s[16:17]
	v_or_b32_e32 v6, 0x80, v4
	v_mul_lo_u16_e32 v5, 0xf1, v6
	v_lshrrev_b16_e32 v7, 13, v5
	v_add_u32_e32 v5, v3, v7
	v_mul_lo_u16_e32 v7, 34, v7
	v_sub_u16_e32 v6, v6, v7
	v_and_b32_e32 v6, 0xff, v6
	v_mad_u64_u32 v[20:21], s[4:5], v5, s3, v[6:7]
	v_ashrrev_i32_e32 v21, 31, v20
	v_lshl_add_u64 v[20:21], v[20:21], 2, s[16:17]
	global_load_dword v11, v[16:17], off
	global_load_dword v9, v[18:19], off
	;; [unrolled: 1-line block ×3, first 2 shown]
	ds_write_b32 v29, v13
	v_mul_u32_u24_e32 v13, 0x88, v22
	v_add3_u32 v8, 0, v13, v8
	v_lshlrev_b32_e32 v2, 2, v2
	v_mul_u32_u24_e32 v1, 0x88, v1
	v_add3_u32 v1, 0, v1, v2
	v_lshlrev_b32_e32 v2, 2, v4
	s_waitcnt vmcnt(6)
	ds_write_b32 v8, v25
	v_mul_u32_u24_e32 v8, 0x88, v23
	v_add3_u32 v8, 0, v8, v10
	s_waitcnt vmcnt(5)
	ds_write_b32 v8, v26
	v_mul_u32_u24_e32 v8, 0x88, v24
	v_lshlrev_b32_e32 v10, 2, v12
	v_add3_u32 v8, 0, v8, v10
	s_waitcnt vmcnt(4)
	ds_write_b32 v8, v27
	v_mul_u32_u24_e32 v8, 0x88, v15
	v_lshlrev_b32_e32 v10, 2, v14
	v_add3_u32 v8, 0, v8, v10
	s_waitcnt vmcnt(3)
	ds_write_b32 v8, v28
	v_or_b32_e32 v8, 0x80, v6
	v_mul_lo_u16_e32 v10, 0xf1, v8
	v_lshrrev_b16_e32 v10, 13, v10
	v_add_u32_e32 v40, v5, v10
	v_mul_lo_u16_e32 v10, 34, v10
	v_sub_u16_e32 v8, v8, v10
	v_and_b32_e32 v8, 0xff, v8
	v_or_b32_e32 v10, 0x80, v8
	s_waitcnt vmcnt(1)
	v_mad_u64_u32 v[12:13], s[4:5], v40, s3, v[8:9]
	v_ashrrev_i32_e32 v13, 31, v12
	v_lshl_add_u64 v[24:25], v[12:13], 2, s[16:17]
	v_mul_lo_u16_e32 v12, 0xf1, v10
	v_lshrrev_b16_e32 v12, 13, v12
	v_add_u32_e32 v41, v40, v12
	v_mul_lo_u16_e32 v12, 34, v12
	v_sub_u16_e32 v10, v10, v12
	v_and_b32_e32 v10, 0xff, v10
	v_mad_u64_u32 v[12:13], s[4:5], v41, s3, v[10:11]
	v_ashrrev_i32_e32 v13, 31, v12
	v_lshl_add_u64 v[26:27], v[12:13], 2, s[16:17]
	v_or_b32_e32 v12, 0x80, v10
	v_mul_lo_u16_e32 v13, 0xf1, v12
	v_lshrrev_b16_e32 v13, 13, v13
	v_add_u32_e32 v42, v41, v13
	v_mul_lo_u16_e32 v13, 34, v13
	v_sub_u16_e32 v12, v12, v13
	v_and_b32_e32 v12, 0xff, v12
	v_mad_u64_u32 v[14:15], s[4:5], v42, s3, v[12:13]
	v_ashrrev_i32_e32 v15, 31, v14
	v_or_b32_e32 v13, 0x80, v12
	v_lshl_add_u64 v[28:29], v[14:15], 2, s[16:17]
	v_mul_lo_u16_e32 v14, 0xf1, v13
	v_lshrrev_b16_e32 v14, 13, v14
	v_add_u32_e32 v15, v42, v14
	v_mul_lo_u16_e32 v14, 34, v14
	v_sub_u16_e32 v13, v13, v14
	v_and_b32_e32 v14, 0xff, v13
	v_mad_u64_u32 v[16:17], s[4:5], v15, s3, v[14:15]
	v_ashrrev_i32_e32 v17, 31, v16
	v_or_b32_e32 v13, 0x80, v14
	v_lshl_add_u64 v[30:31], v[16:17], 2, s[16:17]
	;; [unrolled: 10-line block ×5, first 2 shown]
	v_mul_lo_u16_e32 v22, 0xf1, v13
	v_lshrrev_b16_e32 v22, 13, v22
	v_add_u32_e32 v23, v21, v22
	v_mul_lo_u16_e32 v22, 34, v22
	v_sub_u16_e32 v13, v13, v22
	v_and_b32_e32 v22, 0xff, v13
	v_mad_u64_u32 v[38:39], s[4:5], v23, s3, v[22:23]
	v_ashrrev_i32_e32 v39, 31, v38
	v_lshl_add_u64 v[38:39], v[38:39], 2, s[16:17]
	global_load_dword v13, v[24:25], off
	global_load_dword v43, v[26:27], off
	global_load_dword v44, v[28:29], off
	global_load_dword v45, v[30:31], off
	global_load_dword v46, v[32:33], off
	global_load_dword v47, v[34:35], off
	global_load_dword v48, v[36:37], off
	global_load_dword v49, v[38:39], off
	v_or_b32_e32 v24, 0x80, v22
	v_mul_lo_u16_e32 v25, 0xf1, v24
	v_lshrrev_b16_e32 v25, 13, v25
	v_add_u32_e32 v29, v23, v25
	v_mul_lo_u16_e32 v25, 34, v25
	v_sub_u16_e32 v24, v24, v25
	v_and_b32_e32 v24, 0xff, v24
	v_mad_u64_u32 v[26:27], s[4:5], v29, s3, v[24:25]
	v_or_b32_e32 v25, 0x80, v24
	v_mul_lo_u16_e32 v28, 0xf1, v25
	v_lshrrev_b16_e32 v28, 13, v28
	v_add_u32_e32 v33, v29, v28
	v_mul_lo_u16_e32 v28, 34, v28
	v_sub_u16_e32 v25, v25, v28
	v_and_b32_e32 v28, 0xff, v25
	v_or_b32_e32 v25, 0x80, v28
	v_mul_lo_u16_e32 v32, 0xf1, v25
	v_lshrrev_b16_e32 v32, 13, v32
	v_add_u32_e32 v36, v33, v32
	v_mul_lo_u16_e32 v32, 34, v32
	v_sub_u16_e32 v25, v25, v32
	v_and_b32_e32 v32, 0xff, v25
	v_ashrrev_i32_e32 v27, 31, v26
	v_mad_u64_u32 v[30:31], s[4:5], v33, s3, v[28:29]
	v_mad_u64_u32 v[34:35], s[4:5], v36, s3, v[32:33]
	v_lshl_add_u64 v[26:27], v[26:27], 2, s[16:17]
	v_ashrrev_i32_e32 v31, 31, v30
	v_ashrrev_i32_e32 v35, 31, v34
	v_lshl_add_u64 v[30:31], v[30:31], 2, s[16:17]
	v_lshl_add_u64 v[34:35], v[34:35], 2, s[16:17]
	global_load_dword v25, v[26:27], off
	global_load_dword v37, v[30:31], off
	;; [unrolled: 1-line block ×3, first 2 shown]
	v_or_b32_e32 v26, 0x80, v32
	v_mul_lo_u16_e32 v27, 0xf1, v26
	v_lshrrev_b16_e32 v27, 13, v27
	v_add_u32_e32 v34, v36, v27
	v_mul_lo_u16_e32 v27, 34, v27
	v_sub_u16_e32 v26, v26, v27
	v_and_b32_e32 v26, 0xff, v26
	v_mad_u64_u32 v[30:31], s[4:5], v34, s3, v[26:27]
	v_ashrrev_i32_e32 v31, 31, v30
	v_lshl_add_u64 v[30:31], v[30:31], 2, s[16:17]
	global_load_dword v27, v[30:31], off
	ds_write_b32 v1, v11
	v_mul_lo_u32 v1, v3, s7
	v_add3_u32 v1, 0, v1, v2
	ds_write_b32 v1, v9
	v_mul_lo_u32 v1, v5, s7
	v_lshlrev_b32_e32 v2, 2, v6
	v_add3_u32 v1, 0, v1, v2
	s_waitcnt vmcnt(12)
	ds_write_b32 v1, v7
	v_mul_lo_u32 v1, v40, s7
	v_lshlrev_b32_e32 v2, 2, v8
	v_add3_u32 v1, 0, v1, v2
	v_lshlrev_b32_e32 v2, 2, v10
	s_waitcnt vmcnt(11)
	ds_write_b32 v1, v13
	v_mul_lo_u32 v1, v41, s7
	v_add3_u32 v1, 0, v1, v2
	s_waitcnt vmcnt(10)
	ds_write_b32 v1, v43
	v_mul_lo_u32 v1, v42, s7
	v_lshlrev_b32_e32 v2, 2, v12
	v_add3_u32 v1, 0, v1, v2
	s_waitcnt vmcnt(9)
	ds_write_b32 v1, v44
	v_mul_lo_u32 v1, v15, s7
	v_lshlrev_b32_e32 v2, 2, v14
	;; [unrolled: 5-line block ×7, first 2 shown]
	v_add3_u32 v1, 0, v1, v2
	v_lshlrev_b32_e32 v2, 2, v28
	s_waitcnt vmcnt(3)
	ds_write_b32 v1, v25
	v_mul_lo_u32 v1, v33, s7
	v_add3_u32 v1, 0, v1, v2
	s_waitcnt vmcnt(2)
	ds_write_b32 v1, v37
	v_mul_lo_u32 v1, v36, s7
	v_lshlrev_b32_e32 v2, 2, v32
	v_add3_u32 v1, 0, v1, v2
	s_waitcnt vmcnt(1)
	ds_write_b32 v1, v38
	v_mul_lo_u32 v1, v34, s7
	v_lshlrev_b32_e32 v2, 2, v26
	v_add3_u32 v1, 0, v1, v2
	v_or_b32_e32 v2, 0x80, v26
	s_waitcnt vmcnt(0)
	ds_write_b32 v1, v27
	v_mul_lo_u16_e32 v1, 0xf1, v2
	v_lshrrev_b16_e32 v3, 13, v1
	v_add_u32_e32 v1, v34, v3
	v_mul_lo_u16_e32 v3, 34, v3
	v_sub_u16_e32 v2, v2, v3
	v_and_b32_e32 v2, 0xff, v2
	v_cmp_gt_u32_e32 vcc, s6, v1
	s_and_saveexec_b64 s[4:5], vcc
	s_cbranch_execz .LBB1_2
; %bb.1:
	v_mad_u64_u32 v[4:5], s[8:9], v1, s3, v[2:3]
	v_ashrrev_i32_e32 v5, 31, v4
	v_lshl_add_u64 v[4:5], v[4:5], 2, s[16:17]
	global_load_dword v3, v[4:5], off
	v_mul_lo_u32 v4, v1, s7
	v_lshlrev_b32_e32 v5, 2, v2
	v_add3_u32 v4, 0, v4, v5
	s_waitcnt vmcnt(0)
	ds_write_b32 v4, v3
.LBB1_2:
	s_or_b64 exec, exec, s[4:5]
	v_or_b32_e32 v2, 0x80, v2
	v_mul_lo_u16_e32 v3, 0xf1, v2
	v_lshrrev_b16_e32 v3, 13, v3
	v_add_u32_e32 v1, v1, v3
	v_mul_lo_u16_e32 v3, 34, v3
	v_sub_u16_e32 v2, v2, v3
	v_and_b32_e32 v2, 0xff, v2
	v_cmp_gt_u32_e32 vcc, s6, v1
	s_and_saveexec_b64 s[4:5], vcc
	s_cbranch_execz .LBB1_4
; %bb.3:
	v_mad_u64_u32 v[4:5], s[6:7], v1, s3, v[2:3]
	v_ashrrev_i32_e32 v5, 31, v4
	v_lshl_add_u64 v[4:5], v[4:5], 2, s[16:17]
	global_load_dword v3, v[4:5], off
	s_movk_i32 s6, 0x88
	v_mul_lo_u32 v4, v1, s6
	v_lshlrev_b32_e32 v5, 2, v2
	v_add3_u32 v4, 0, v4, v5
	s_waitcnt vmcnt(0)
	ds_write_b32 v4, v3
.LBB1_4:
	s_or_b64 exec, exec, s[4:5]
	v_or_b32_e32 v2, 0x80, v2
	v_mul_lo_u16_e32 v3, 0xf1, v2
	v_lshrrev_b16_e32 v3, 13, v3
	v_add_u32_e32 v1, v1, v3
	v_mul_lo_u16_e32 v3, 34, v3
	s_movk_i32 s6, 0x80
	v_sub_u16_e32 v2, v2, v3
	v_and_b32_e32 v2, 0xff, v2
	v_cmp_gt_u32_e32 vcc, s6, v1
	s_and_saveexec_b64 s[4:5], vcc
	s_cbranch_execz .LBB1_6
; %bb.5:
	v_mad_u64_u32 v[4:5], s[8:9], v1, s3, v[2:3]
	v_ashrrev_i32_e32 v5, 31, v4
	v_lshl_add_u64 v[4:5], v[4:5], 2, s[16:17]
	global_load_dword v3, v[4:5], off
	s_movk_i32 s7, 0x88
	v_mul_lo_u32 v4, v1, s7
	v_lshlrev_b32_e32 v5, 2, v2
	v_add3_u32 v4, 0, v4, v5
	s_waitcnt vmcnt(0)
	ds_write_b32 v4, v3
.LBB1_6:
	s_or_b64 exec, exec, s[4:5]
	v_or_b32_e32 v2, 0x80, v2
	v_mul_lo_u16_e32 v3, 0xf1, v2
	v_lshrrev_b16_e32 v3, 13, v3
	v_add_u32_e32 v1, v1, v3
	v_mul_lo_u16_e32 v3, 34, v3
	v_sub_u16_e32 v2, v2, v3
	v_and_b32_e32 v2, 0xff, v2
	v_cmp_gt_u32_e32 vcc, s6, v1
	s_and_saveexec_b64 s[4:5], vcc
	s_cbranch_execz .LBB1_8
; %bb.7:
	v_mad_u64_u32 v[4:5], s[6:7], v1, s3, v[2:3]
	v_ashrrev_i32_e32 v5, 31, v4
	v_lshl_add_u64 v[4:5], v[4:5], 2, s[16:17]
	global_load_dword v3, v[4:5], off
	s_movk_i32 s6, 0x88
	v_mul_lo_u32 v4, v1, s6
	v_lshlrev_b32_e32 v5, 2, v2
	v_add3_u32 v4, 0, v4, v5
	s_waitcnt vmcnt(0)
	ds_write_b32 v4, v3
.LBB1_8:
	s_or_b64 exec, exec, s[4:5]
	v_or_b32_e32 v2, 0x80, v2
	v_mul_lo_u16_e32 v3, 0xf1, v2
	v_lshrrev_b16_e32 v3, 13, v3
	v_add_u32_e32 v1, v1, v3
	v_mul_lo_u16_e32 v3, 34, v3
	s_movk_i32 s6, 0x80
	v_sub_u16_e32 v2, v2, v3
	v_and_b32_e32 v2, 0xff, v2
	v_cmp_gt_u32_e32 vcc, s6, v1
	s_and_saveexec_b64 s[4:5], vcc
	s_cbranch_execz .LBB1_10
; %bb.9:
	v_mad_u64_u32 v[4:5], s[8:9], v1, s3, v[2:3]
	v_ashrrev_i32_e32 v5, 31, v4
	v_lshl_add_u64 v[4:5], v[4:5], 2, s[16:17]
	global_load_dword v3, v[4:5], off
	s_movk_i32 s7, 0x88
	v_mul_lo_u32 v4, v1, s7
	v_lshlrev_b32_e32 v5, 2, v2
	v_add3_u32 v4, 0, v4, v5
	s_waitcnt vmcnt(0)
	ds_write_b32 v4, v3
.LBB1_10:
	;; [unrolled: 47-line block ×3, first 2 shown]
	s_or_b64 exec, exec, s[4:5]
	s_load_dwordx4 s[4:7], s[0:1], 0x8
	s_load_dwordx2 s[8:9], s[0:1], 0x28
	s_movk_i32 s10, 0x380
	v_cmp_gt_u32_e32 vcc, s10, v0
	s_and_saveexec_b64 s[18:19], vcc
	s_cbranch_execz .LBB1_35
; %bb.15:
	v_or_b32_e32 v2, 0x80, v2
	v_mul_lo_u16_e32 v3, 0xf1, v2
	v_lshrrev_b16_e32 v3, 13, v3
	v_add_u32_e32 v1, v1, v3
	v_mul_lo_u16_e32 v3, 34, v3
	s_movk_i32 s10, 0x80
	v_sub_u16_e32 v2, v2, v3
	v_and_b32_e32 v2, 0xff, v2
	v_cmp_gt_u32_e32 vcc, s10, v1
	s_and_saveexec_b64 s[20:21], vcc
	s_cbranch_execz .LBB1_17
; %bb.16:
	v_mad_u64_u32 v[4:5], s[22:23], v1, s3, v[2:3]
	v_ashrrev_i32_e32 v5, 31, v4
	v_lshl_add_u64 v[4:5], v[4:5], 2, s[16:17]
	global_load_dword v3, v[4:5], off
	s_movk_i32 s10, 0x88
	v_mul_lo_u32 v4, v1, s10
	v_lshlrev_b32_e32 v5, 2, v2
	v_add3_u32 v4, 0, v4, v5
	s_waitcnt vmcnt(0)
	ds_write_b32 v4, v3
.LBB1_17:
	s_or_b64 exec, exec, s[20:21]
	s_movk_i32 s10, 0x300
	v_cmp_gt_u32_e32 vcc, s10, v0
	s_and_b64 exec, exec, vcc
	s_cbranch_execz .LBB1_35
; %bb.18:
	v_or_b32_e32 v2, 0x80, v2
	v_mul_lo_u16_e32 v3, 0xf1, v2
	v_lshrrev_b16_e32 v3, 13, v3
	v_add_u32_e32 v1, v1, v3
	v_mul_lo_u16_e32 v3, 34, v3
	s_movk_i32 s10, 0x80
	v_sub_u16_e32 v2, v2, v3
	v_and_b32_e32 v2, 0xff, v2
	v_cmp_gt_u32_e32 vcc, s10, v1
	s_and_saveexec_b64 s[20:21], vcc
	s_cbranch_execz .LBB1_20
; %bb.19:
	v_mad_u64_u32 v[4:5], s[22:23], v1, s3, v[2:3]
	v_ashrrev_i32_e32 v5, 31, v4
	v_lshl_add_u64 v[4:5], v[4:5], 2, s[16:17]
	global_load_dword v3, v[4:5], off
	s_movk_i32 s10, 0x88
	v_mul_lo_u32 v4, v1, s10
	v_lshlrev_b32_e32 v5, 2, v2
	v_add3_u32 v4, 0, v4, v5
	s_waitcnt vmcnt(0)
	ds_write_b32 v4, v3
.LBB1_20:
	s_or_b64 exec, exec, s[20:21]
	s_movk_i32 s10, 0x280
	v_cmp_gt_u32_e32 vcc, s10, v0
	s_and_b64 exec, exec, vcc
	;; [unrolled: 29-line block ×5, first 2 shown]
	s_cbranch_execz .LBB1_35
; %bb.30:
	v_or_b32_e32 v2, 0x80, v2
	v_mul_lo_u16_e32 v3, 0xf1, v2
	v_lshrrev_b16_e32 v3, 13, v3
	v_add_u32_e32 v1, v1, v3
	v_mul_lo_u16_e32 v3, 34, v3
	s_movk_i32 s10, 0x80
	v_sub_u16_e32 v2, v2, v3
	v_and_b32_e32 v2, 0xff, v2
	v_cmp_gt_u32_e32 vcc, s10, v1
	s_and_saveexec_b64 s[20:21], vcc
	s_cbranch_execz .LBB1_32
; %bb.31:
	v_mad_u64_u32 v[4:5], s[22:23], v1, s3, v[2:3]
	v_ashrrev_i32_e32 v5, 31, v4
	v_lshl_add_u64 v[4:5], v[4:5], 2, s[16:17]
	global_load_dword v3, v[4:5], off
	s_movk_i32 s22, 0x88
	v_mul_lo_u32 v4, v1, s22
	v_lshlrev_b32_e32 v5, 2, v2
	v_add3_u32 v4, 0, v4, v5
	s_waitcnt vmcnt(0)
	ds_write_b32 v4, v3
.LBB1_32:
	s_or_b64 exec, exec, s[20:21]
	v_cmp_gt_u32_e32 vcc, s10, v0
	s_and_b64 exec, exec, vcc
	s_cbranch_execz .LBB1_35
; %bb.33:
	v_or_b32_e32 v2, 0x80, v2
	v_mul_lo_u16_e32 v3, 0xf1, v2
	v_lshrrev_b16_e32 v3, 13, v3
	v_add_u32_e32 v1, v1, v3
	v_cmp_gt_u32_e32 vcc, s10, v1
	s_and_b64 exec, exec, vcc
	s_cbranch_execz .LBB1_35
; %bb.34:
	v_mul_lo_u16_e32 v3, 34, v3
	v_sub_u16_e32 v2, v2, v3
	v_and_b32_e32 v2, 0xff, v2
	v_mad_u64_u32 v[4:5], s[20:21], v1, s3, v[2:3]
	v_ashrrev_i32_e32 v5, 31, v4
	v_lshl_add_u64 v[4:5], v[4:5], 2, s[16:17]
	global_load_dword v3, v[4:5], off
	s_movk_i32 s3, 0x88
	v_mul_lo_u32 v1, v1, s3
	v_lshlrev_b32_e32 v2, 2, v2
	v_add3_u32 v1, 0, v1, v2
	s_waitcnt vmcnt(0)
	ds_write_b32 v1, v3
.LBB1_35:
	s_or_b64 exec, exec, s[18:19]
	s_ashr_i32 s3, s11, 31
	s_mul_hi_u32 s10, s12, s11
	s_mul_i32 s3, s12, s3
	s_add_i32 s3, s10, s3
	s_mul_i32 s10, s13, s11
	s_add_i32 s3, s3, s10
	s_mul_i32 s10, s12, s11
	s_waitcnt lgkmcnt(0)
	s_add_u32 s4, s4, s10
	s_addc_u32 s5, s5, s3
	s_ashr_i32 s3, s11, 2
	v_mul_lo_u32 v2, s3, v0
	v_ashrrev_i32_e32 v3, 31, v2
	v_lshl_add_u64 v[2:3], v[2:3], 2, s[4:5]
	s_barrier
	global_load_dwordx3 v[2:4], v[2:3], off
	s_cmp_eq_u64 s[6:7], 0
	v_lshlrev_b32_e32 v10, 2, v0
	s_cbranch_scc1 .LBB1_37
; %bb.36:
	s_lshl_b64 s[4:5], s[12:13], 2
	s_add_u32 s4, s6, s4
	s_addc_u32 s5, s7, s5
	global_load_dword v6, v10, s[4:5]
	s_branch .LBB1_38
.LBB1_37:
	v_mov_b32_e32 v6, 0
.LBB1_38:
	s_load_dwordx2 s[4:5], s[0:1], 0x40
	s_waitcnt lgkmcnt(0)
	s_sub_u32 s10, s4, s14
	s_subb_u32 s11, s5, s15
	v_cmp_lt_i64_e64 s[4:5], s[10:11], 1
	s_and_b64 vcc, exec, s[4:5]
	s_cbranch_vccnz .LBB1_46
; %bb.39:
	s_load_dwordx4 s[4:7], s[0:1], 0x30
	s_waitcnt vmcnt(0)
	v_mov_b32_e32 v8, v3
	v_mov_b32_e32 v9, v4
	v_mul_u32_u24_e32 v18, 0x88, v0
	v_mov_b32_e32 v11, 0
	s_waitcnt lgkmcnt(0)
	s_ashr_i32 s0, s5, 31
	s_mul_hi_u32 s1, s14, s5
	s_mul_i32 s0, s14, s0
	s_add_i32 s0, s1, s0
	s_mul_i32 s1, s15, s5
	s_add_i32 s15, s0, s1
	s_ashr_i32 s0, s4, 31
	s_mul_hi_u32 s1, s12, s4
	s_mul_i32 s0, s12, s0
	s_mul_i32 s16, s6, s2
	s_add_i32 s0, s1, s0
	s_mul_i32 s1, s13, s4
	s_ashr_i32 s17, s16, 31
	s_add_i32 s13, s0, s1
	s_ashr_i32 s2, s5, 2
	v_cmp_lt_u64_e64 s[0:1], s[10:11], 32
	s_and_b64 s[0:1], s[0:1], exec
	s_cselect_b32 s7, s11, 0
	s_cselect_b32 s6, s10, 32
	s_cmp_eq_u64 s[10:11], 1
	s_cselect_b64 s[0:1], -1, 0
	s_cmp_lg_u32 s2, 1
	s_cselect_b64 s[10:11], -1, 0
	s_or_b64 s[0:1], s[0:1], s[10:11]
	s_mul_i32 s14, s14, s5
	s_mul_i32 s12, s12, s4
	s_mov_b32 s5, 0
	s_and_b64 vcc, exec, s[0:1]
	s_cbranch_vccnz .LBB1_43
; %bb.40:
	s_add_u32 s0, s8, s16
	s_addc_u32 s1, s9, s17
	v_add_u32_e32 v19, 0, v18
	s_add_u32 s0, s0, s14
	ds_read2_b32 v[16:17], v19 offset1:1
	s_addc_u32 s1, s1, s15
	s_add_u32 s0, s0, s12
	s_addc_u32 s1, s1, s13
	s_and_b32 s4, s6, 62
	v_lshl_add_u64 v[0:1], s[0:1], 0, v[10:11]
	v_mov_b32_e32 v12, v2
	v_mov_b32_e32 v13, v2
	;; [unrolled: 1-line block ×6, first 2 shown]
	s_mov_b32 s3, 0xbfb8aa3b
	s_mov_b32 s18, 0x42ce8ed0
	;; [unrolled: 1-line block ×3, first 2 shown]
	v_mov_b32_e32 v3, 0x7f800000
	s_mov_b64 s[10:11], s[4:5]
.LBB1_41:                               ; =>This Inner Loop Header: Depth=1
	s_waitcnt lgkmcnt(0)
	v_pk_fma_f32 v[20:21], v[12:13], v[16:17], 0 op_sel_hi:[1,1,0]
	ds_read2_b32 v[22:23], v19 offset0:1 offset1:2
	ds_read2_b32 v[16:17], v19 offset0:2 offset1:3
	v_add_u32_e32 v11, 8, v19
	v_mov_b32_e32 v19, v11
	s_add_u32 s10, s10, -2
	s_waitcnt lgkmcnt(1)
	v_pk_fma_f32 v[20:21], v[14:15], v[22:23], v[20:21]
	s_addc_u32 s11, s11, -1
	s_waitcnt lgkmcnt(0)
	v_pk_fma_f32 v[20:21], v[4:5], v[16:17], v[20:21]
	s_cmp_lg_u64 s[10:11], 0
	v_pk_add_f32 v[20:21], v[6:7], v[20:21]
	s_nop 0
	v_mul_f32_e32 v11, 0xbfb8aa3b, v21
	v_mul_f32_e32 v22, 0xbfb8aa3b, v20
	v_fma_f32 v23, v21, s3, -v11
	v_rndne_f32_e32 v24, v11
	v_fma_f32 v25, v20, s3, -v22
	v_rndne_f32_e32 v26, v22
	v_fmac_f32_e32 v23, 0xb2a5705f, v21
	v_sub_f32_e32 v11, v11, v24
	v_fmac_f32_e32 v25, 0xb2a5705f, v20
	v_sub_f32_e32 v22, v22, v26
	v_add_f32_e32 v11, v11, v23
	v_add_f32_e32 v22, v22, v25
	v_cvt_i32_f32_e32 v24, v24
	v_cvt_i32_f32_e32 v26, v26
	v_exp_f32_e32 v11, v11
	v_exp_f32_e32 v22, v22
	v_cmp_nlt_f32_e32 vcc, s18, v20
	v_cmp_nlt_f32_e64 s[0:1], s18, v21
	v_ldexp_f32 v11, v11, v24
	v_ldexp_f32 v22, v22, v26
	v_cndmask_b32_e64 v11, 0, v11, s[0:1]
	v_cndmask_b32_e32 v22, 0, v22, vcc
	v_cmp_ngt_f32_e32 vcc, s19, v20
	v_cmp_ngt_f32_e64 s[0:1], s19, v21
	s_nop 0
	v_cndmask_b32_e32 v22, v3, v22, vcc
	v_cndmask_b32_e64 v23, v3, v11, s[0:1]
	v_pk_add_f32 v[22:23], v[22:23], 1.0 op_sel_hi:[1,0]
	s_nop 0
	v_div_scale_f32 v11, s[0:1], v23, v23, v21
	v_div_scale_f32 v25, s[0:1], v22, v22, v20
	v_rcp_f32_e32 v27, v11
	v_rcp_f32_e32 v28, v25
	v_div_scale_f32 v24, vcc, v21, v23, v21
	v_fma_f32 v29, -v11, v27, 1.0
	v_fma_f32 v30, -v25, v28, 1.0
	v_fmac_f32_e32 v27, v29, v27
	v_div_scale_f32 v26, s[0:1], v20, v22, v20
	v_fmac_f32_e32 v28, v30, v28
	v_mul_f32_e32 v29, v24, v27
	v_mul_f32_e32 v30, v26, v28
	v_fma_f32 v31, -v11, v29, v24
	v_fma_f32 v32, -v25, v30, v26
	v_fmac_f32_e32 v29, v31, v27
	v_fmac_f32_e32 v30, v32, v28
	v_fma_f32 v11, -v11, v29, v24
	v_fma_f32 v24, -v25, v30, v26
	v_div_fmas_f32 v11, v11, v27, v29
	s_mov_b64 vcc, s[0:1]
	v_div_fixup_f32 v21, v11, v23, v21
	v_div_fmas_f32 v11, v24, v28, v30
	v_div_fixup_f32 v20, v11, v22, v20
	global_store_dwordx2 v[0:1], v[20:21], off
	v_lshl_add_u64 v[0:1], v[0:1], 0, 8
	s_cbranch_scc1 .LBB1_41
; %bb.42:
	s_cmp_lg_u64 s[6:7], s[4:5]
	s_cselect_b64 s[0:1], -1, 0
	s_and_b64 vcc, exec, s[0:1]
	s_cbranch_vccnz .LBB1_44
	s_branch .LBB1_46
.LBB1_43:
	s_mov_b64 s[4:5], 0
	s_cbranch_execz .LBB1_46
.LBB1_44:
	s_ashr_i32 s3, s2, 31
	s_sub_u32 s0, s6, s4
	s_subb_u32 s1, s7, s5
	s_add_u32 s5, s12, s14
	s_mul_hi_i32 s7, s4, s2
	s_mul_i32 s6, s4, s2
	s_addc_u32 s10, s13, s15
	s_lshl_b64 s[6:7], s[6:7], 2
	s_add_u32 s5, s5, s6
	s_addc_u32 s7, s10, s7
	s_add_u32 s6, s8, s16
	s_addc_u32 s8, s9, s17
	s_add_u32 s6, s6, s5
	s_addc_u32 s7, s8, s7
	s_lshl_b32 s4, s4, 2
	s_add_i32 s4, s4, 0
	v_add_u32_e32 v7, s4, v18
	ds_read_b32 v4, v7
	v_mov_b32_e32 v11, 0
	v_lshl_add_u64 v[0:1], s[6:7], 0, v[10:11]
	s_lshl_b64 s[2:3], s[2:3], 2
	s_mov_b32 s4, 0xbfb8aa3b
	s_mov_b32 s5, 0x42ce8ed0
	;; [unrolled: 1-line block ×3, first 2 shown]
	v_mov_b32_e32 v3, 0x7f800000
.LBB1_45:                               ; =>This Inner Loop Header: Depth=1
	s_waitcnt lgkmcnt(0)
	v_fma_f32 v12, v2, v4, 0
	ds_read2_b32 v[4:5], v7 offset0:1 offset1:2
	v_add_u32_e32 v10, 4, v7
	v_mov_b32_e32 v7, v10
	s_add_u32 s0, s0, -1
	s_addc_u32 s1, s1, -1
	s_waitcnt lgkmcnt(0)
	v_pk_mul_f32 v[10:11], v[8:9], v[4:5]
	s_cmp_lg_u64 s[0:1], 0
	v_add_f32_e32 v5, v12, v10
	v_add_f32_e32 v5, v5, v11
	;; [unrolled: 1-line block ×3, first 2 shown]
	v_mul_f32_e32 v10, 0xbfb8aa3b, v5
	v_fma_f32 v11, v5, s4, -v10
	v_rndne_f32_e32 v12, v10
	v_fmac_f32_e32 v11, 0xb2a5705f, v5
	v_sub_f32_e32 v10, v10, v12
	v_add_f32_e32 v10, v10, v11
	v_cvt_i32_f32_e32 v12, v12
	v_exp_f32_e32 v10, v10
	v_cmp_nlt_f32_e32 vcc, s5, v5
	v_ldexp_f32 v10, v10, v12
	s_nop 0
	v_cndmask_b32_e32 v10, 0, v10, vcc
	v_cmp_ngt_f32_e32 vcc, s6, v5
	s_nop 1
	v_cndmask_b32_e32 v10, v3, v10, vcc
	v_add_f32_e32 v10, 1.0, v10
	v_div_scale_f32 v11, s[8:9], v10, v10, v5
	v_rcp_f32_e32 v12, v11
	v_div_scale_f32 v13, vcc, v5, v10, v5
	v_fma_f32 v14, -v11, v12, 1.0
	v_fmac_f32_e32 v12, v14, v12
	v_mul_f32_e32 v14, v13, v12
	v_fma_f32 v15, -v11, v14, v13
	v_fmac_f32_e32 v14, v15, v12
	v_fma_f32 v11, -v11, v14, v13
	v_div_fmas_f32 v11, v11, v12, v14
	v_div_fixup_f32 v5, v11, v10, v5
	global_store_dword v[0:1], v5, off
	v_lshl_add_u64 v[0:1], v[0:1], 0, s[2:3]
	s_cbranch_scc1 .LBB1_45
.LBB1_46:
	s_endpgm
	.section	.rodata,"a",@progbits
	.p2align	6, 0x0
	.amdhsa_kernel _ZL23ssm_conv_long_token_f32ILb1ELm128ELm3ELl32EEvPKfS1_S1_iiiiPfiiil
		.amdhsa_group_segment_fixed_size 0
		.amdhsa_private_segment_fixed_size 0
		.amdhsa_kernarg_size 72
		.amdhsa_user_sgpr_count 2
		.amdhsa_user_sgpr_dispatch_ptr 0
		.amdhsa_user_sgpr_queue_ptr 0
		.amdhsa_user_sgpr_kernarg_segment_ptr 1
		.amdhsa_user_sgpr_dispatch_id 0
		.amdhsa_user_sgpr_kernarg_preload_length 0
		.amdhsa_user_sgpr_kernarg_preload_offset 0
		.amdhsa_user_sgpr_private_segment_size 0
		.amdhsa_uses_dynamic_stack 0
		.amdhsa_enable_private_segment 0
		.amdhsa_system_sgpr_workgroup_id_x 1
		.amdhsa_system_sgpr_workgroup_id_y 1
		.amdhsa_system_sgpr_workgroup_id_z 1
		.amdhsa_system_sgpr_workgroup_info 0
		.amdhsa_system_vgpr_workitem_id 0
		.amdhsa_next_free_vgpr 50
		.amdhsa_next_free_sgpr 24
		.amdhsa_accum_offset 52
		.amdhsa_reserve_vcc 1
		.amdhsa_float_round_mode_32 0
		.amdhsa_float_round_mode_16_64 0
		.amdhsa_float_denorm_mode_32 3
		.amdhsa_float_denorm_mode_16_64 3
		.amdhsa_dx10_clamp 1
		.amdhsa_ieee_mode 1
		.amdhsa_fp16_overflow 0
		.amdhsa_tg_split 0
		.amdhsa_exception_fp_ieee_invalid_op 0
		.amdhsa_exception_fp_denorm_src 0
		.amdhsa_exception_fp_ieee_div_zero 0
		.amdhsa_exception_fp_ieee_overflow 0
		.amdhsa_exception_fp_ieee_underflow 0
		.amdhsa_exception_fp_ieee_inexact 0
		.amdhsa_exception_int_div_zero 0
	.end_amdhsa_kernel
	.section	.text._ZL23ssm_conv_long_token_f32ILb1ELm128ELm3ELl32EEvPKfS1_S1_iiiiPfiiil,"axG",@progbits,_ZL23ssm_conv_long_token_f32ILb1ELm128ELm3ELl32EEvPKfS1_S1_iiiiPfiiil,comdat
.Lfunc_end1:
	.size	_ZL23ssm_conv_long_token_f32ILb1ELm128ELm3ELl32EEvPKfS1_S1_iiiiPfiiil, .Lfunc_end1-_ZL23ssm_conv_long_token_f32ILb1ELm128ELm3ELl32EEvPKfS1_S1_iiiiPfiiil
                                        ; -- End function
	.set _ZL23ssm_conv_long_token_f32ILb1ELm128ELm3ELl32EEvPKfS1_S1_iiiiPfiiil.num_vgpr, 50
	.set _ZL23ssm_conv_long_token_f32ILb1ELm128ELm3ELl32EEvPKfS1_S1_iiiiPfiiil.num_agpr, 0
	.set _ZL23ssm_conv_long_token_f32ILb1ELm128ELm3ELl32EEvPKfS1_S1_iiiiPfiiil.numbered_sgpr, 24
	.set _ZL23ssm_conv_long_token_f32ILb1ELm128ELm3ELl32EEvPKfS1_S1_iiiiPfiiil.num_named_barrier, 0
	.set _ZL23ssm_conv_long_token_f32ILb1ELm128ELm3ELl32EEvPKfS1_S1_iiiiPfiiil.private_seg_size, 0
	.set _ZL23ssm_conv_long_token_f32ILb1ELm128ELm3ELl32EEvPKfS1_S1_iiiiPfiiil.uses_vcc, 1
	.set _ZL23ssm_conv_long_token_f32ILb1ELm128ELm3ELl32EEvPKfS1_S1_iiiiPfiiil.uses_flat_scratch, 0
	.set _ZL23ssm_conv_long_token_f32ILb1ELm128ELm3ELl32EEvPKfS1_S1_iiiiPfiiil.has_dyn_sized_stack, 0
	.set _ZL23ssm_conv_long_token_f32ILb1ELm128ELm3ELl32EEvPKfS1_S1_iiiiPfiiil.has_recursion, 0
	.set _ZL23ssm_conv_long_token_f32ILb1ELm128ELm3ELl32EEvPKfS1_S1_iiiiPfiiil.has_indirect_call, 0
	.section	.AMDGPU.csdata,"",@progbits
; Kernel info:
; codeLenInByte = 5188
; TotalNumSgprs: 30
; NumVgprs: 50
; NumAgprs: 0
; TotalNumVgprs: 50
; ScratchSize: 0
; MemoryBound: 0
; FloatMode: 240
; IeeeMode: 1
; LDSByteSize: 0 bytes/workgroup (compile time only)
; SGPRBlocks: 3
; VGPRBlocks: 6
; NumSGPRsForWavesPerEU: 30
; NumVGPRsForWavesPerEU: 50
; AccumOffset: 52
; Occupancy: 8
; WaveLimiterHint : 0
; COMPUTE_PGM_RSRC2:SCRATCH_EN: 0
; COMPUTE_PGM_RSRC2:USER_SGPR: 2
; COMPUTE_PGM_RSRC2:TRAP_HANDLER: 0
; COMPUTE_PGM_RSRC2:TGID_X_EN: 1
; COMPUTE_PGM_RSRC2:TGID_Y_EN: 1
; COMPUTE_PGM_RSRC2:TGID_Z_EN: 1
; COMPUTE_PGM_RSRC2:TIDIG_COMP_CNT: 0
; COMPUTE_PGM_RSRC3_GFX90A:ACCUM_OFFSET: 12
; COMPUTE_PGM_RSRC3_GFX90A:TG_SPLIT: 0
	.section	.text._ZL12ssm_conv_f32ILb1ELm128ELm4EEvPKfS1_S1_iiiiPfiiil,"axG",@progbits,_ZL12ssm_conv_f32ILb1ELm128ELm4EEvPKfS1_S1_iiiiPfiiil,comdat
	.globl	_ZL12ssm_conv_f32ILb1ELm128ELm4EEvPKfS1_S1_iiiiPfiiil ; -- Begin function _ZL12ssm_conv_f32ILb1ELm128ELm4EEvPKfS1_S1_iiiiPfiiil
	.p2align	8
	.type	_ZL12ssm_conv_f32ILb1ELm128ELm4EEvPKfS1_S1_iiiiPfiiil,@function
_ZL12ssm_conv_f32ILb1ELm128ELm4EEvPKfS1_S1_iiiiPfiiil: ; @_ZL12ssm_conv_f32ILb1ELm128ELm4EEvPKfS1_S1_iiiiPfiiil
; %bb.0:
	s_load_dwordx4 s[12:15], s[0:1], 0x1c
	s_load_dwordx4 s[4:7], s[0:1], 0x0
	s_load_dwordx2 s[10:11], s[0:1], 0x10
	s_mov_b32 s8, s3
	s_ashr_i32 s9, s3, 31
	s_lshl_b64 s[16:17], s[8:9], 7
	s_waitcnt lgkmcnt(0)
	s_ashr_i32 s3, s14, 31
	s_mul_i32 s3, s16, s3
	s_mul_hi_u32 s15, s16, s14
	s_lshr_b64 s[8:9], s[8:9], 25
	s_add_i32 s3, s15, s3
	s_mul_i32 s8, s8, s14
	s_add_i32 s3, s3, s8
	s_mul_i32 s8, s16, s14
	s_add_u32 s8, s6, s8
	s_addc_u32 s9, s7, s3
	s_cmp_eq_u64 s[10:11], 0
	v_lshlrev_b32_e32 v10, 2, v0
	s_cbranch_scc1 .LBB2_2
; %bb.1:
	s_lshl_b64 s[6:7], s[16:17], 2
	s_add_u32 s6, s10, s6
	s_addc_u32 s7, s11, s7
	global_load_dword v14, v10, s[6:7]
	s_load_dwordx2 s[6:7], s[0:1], 0x40
	s_waitcnt lgkmcnt(0)
	v_cmp_lt_i64_e64 s[10:11], s[6:7], 1
	s_and_b64 vcc, exec, s[10:11]
	s_cbranch_vccz .LBB2_3
	s_branch .LBB2_6
.LBB2_2:
	v_mov_b32_e32 v14, 0
	s_load_dwordx2 s[6:7], s[0:1], 0x40
	s_waitcnt lgkmcnt(0)
	v_cmp_lt_i64_e64 s[10:11], s[6:7], 1
	s_and_b64 vcc, exec, s[10:11]
	s_cbranch_vccnz .LBB2_6
.LBB2_3:
	s_ashr_i32 s3, s14, 2
	v_mul_lo_u32 v2, s3, v0
	v_ashrrev_i32_e32 v3, 31, v2
	v_lshl_add_u64 v[2:3], v[2:3], 2, s[8:9]
	global_load_dwordx4 v[2:5], v[2:3], off
	s_load_dwordx2 s[14:15], s[0:1], 0x28
	s_load_dwordx4 s[8:11], s[0:1], 0x30
	s_ashr_i32 s1, s12, 31
	s_waitcnt lgkmcnt(0)
	s_mul_hi_u32 s11, s16, s12
	s_mul_i32 s1, s16, s1
	s_add_i32 s1, s11, s1
	s_mul_i32 s11, s17, s12
	s_mul_i32 s0, s13, s2
	s_add_i32 s11, s1, s11
	s_mul_i32 s1, s10, s2
	s_ashr_i32 s3, s0, 31
	s_ashr_i32 s2, s1, 31
	s_add_u32 s18, s14, s1
	s_addc_u32 s21, s15, s2
	s_ashr_i32 s10, s8, 31
	s_mul_hi_u32 s19, s16, s8
	s_mul_i32 s10, s16, s10
	s_add_i32 s10, s19, s10
	s_mul_i32 s17, s17, s8
	s_add_i32 s10, s10, s17
	s_mul_i32 s19, s16, s8
	s_add_u32 s20, s18, s19
	s_addc_u32 s21, s21, s10
	s_add_u32 s8, s4, s0
	s_mul_i32 s13, s16, s12
	s_addc_u32 s17, s5, s3
	s_add_u32 s16, s8, s13
	s_addc_u32 s17, s17, s11
	s_ashr_i32 s8, s12, 2
	v_mul_lo_u32 v0, s8, v0
	v_ashrrev_i32_e32 v1, 31, v0
	v_lshl_add_u64 v[6:7], v[0:1], 2, s[16:17]
	global_load_dwordx4 v[6:9], v[6:7], off
	s_mov_b32 s16, 0xbfb8aa3b
	s_mov_b32 s17, 0x42ce8ed0
	;; [unrolled: 1-line block ×3, first 2 shown]
	s_cmp_eq_u64 s[6:7], 1
	s_waitcnt vmcnt(0)
	v_pk_mul_f32 v[12:13], v[2:3], v[6:7]
	s_nop 0
	v_add_f32_e32 v11, 0, v12
	v_pk_mul_f32 v[16:17], v[4:5], v[8:9]
	v_add_f32_e32 v11, v11, v13
	v_add_f32_e32 v11, v11, v16
	;; [unrolled: 1-line block ×4, first 2 shown]
	v_mul_f32_e32 v12, 0xbfb8aa3b, v11
	v_fma_f32 v13, v11, s16, -v12
	v_rndne_f32_e32 v15, v12
	v_fmac_f32_e32 v13, 0xb2a5705f, v11
	v_sub_f32_e32 v12, v12, v15
	v_add_f32_e32 v12, v12, v13
	v_cvt_i32_f32_e32 v16, v15
	v_exp_f32_e32 v12, v12
	v_cmp_nlt_f32_e32 vcc, s17, v11
	v_mov_b32_e32 v15, 0x7f800000
	v_ldexp_f32 v12, v12, v16
	v_cndmask_b32_e32 v12, 0, v12, vcc
	v_cmp_ngt_f32_e32 vcc, s18, v11
	s_nop 1
	v_cndmask_b32_e32 v12, v15, v12, vcc
	v_add_f32_e32 v12, 1.0, v12
	v_div_scale_f32 v13, s[22:23], v12, v12, v11
	v_rcp_f32_e32 v16, v13
	v_div_scale_f32 v17, vcc, v11, v12, v11
	v_fma_f32 v18, -v13, v16, 1.0
	v_fmac_f32_e32 v16, v18, v16
	v_mul_f32_e32 v18, v17, v16
	v_fma_f32 v19, -v13, v18, v17
	v_fmac_f32_e32 v18, v19, v16
	v_fma_f32 v13, -v13, v18, v17
	v_div_fmas_f32 v13, v13, v16, v18
	v_div_fixup_f32 v11, v13, v12, v11
	global_store_dword v10, v11, s[20:21]
	s_cbranch_scc1 .LBB2_6
; %bb.4:
	s_ashr_i32 s8, s9, 2
	s_ashr_i32 s9, s8, 31
	s_add_u32 s6, s6, -1
	s_addc_u32 s7, s7, -1
	s_add_u32 s0, s4, s0
	s_addc_u32 s3, s5, s3
	s_add_u32 s4, s0, s13
	s_addc_u32 s5, s3, s11
	s_lshl_b64 s[8:9], s[8:9], 2
	s_add_u32 s0, s19, s8
	s_addc_u32 s3, s10, s9
	s_add_u32 s1, s14, s1
	s_addc_u32 s2, s15, s2
	s_add_u32 s0, s1, s0
	v_mov_b32_e32 v11, 0
	v_lshl_add_u64 v[0:1], v[0:1], 2, s[4:5]
	s_addc_u32 s1, s2, s3
	v_lshl_add_u64 v[0:1], v[0:1], 0, 16
	v_lshl_add_u64 v[10:11], s[0:1], 0, v[10:11]
	s_mov_b64 s[10:11], 0
.LBB2_5:                                ; =>This Inner Loop Header: Depth=1
	global_load_dword v13, v[0:1], off
	s_add_u32 s12, s10, 1
	s_addc_u32 s13, s11, 0
	s_add_i32 s0, s10, 4
	s_and_b32 s4, s0, 3
	s_cmp_eq_u32 s4, 3
	s_cselect_b64 vcc, -1, 0
	s_cmp_eq_u32 s4, 2
	s_cselect_b64 s[0:1], -1, 0
	s_cmp_eq_u32 s4, 1
	s_cselect_b64 s[2:3], -1, 0
	s_cmp_eq_u32 s4, 0
	s_cselect_b64 s[4:5], -1, 0
	s_and_b32 s14, s12, 3
	s_cmp_eq_u32 s14, 1
	v_lshl_add_u64 v[0:1], v[0:1], 0, 4
	s_waitcnt vmcnt(0)
	v_cndmask_b32_e32 v9, v9, v13, vcc
	v_cndmask_b32_e64 v7, v7, v13, s[2:3]
	v_cndmask_b32_e64 v6, v6, v13, s[4:5]
	s_cselect_b64 vcc, -1, 0
	s_cmp_eq_u32 s14, 2
	v_cndmask_b32_e64 v8, v8, v13, s[0:1]
	v_cndmask_b32_e32 v12, v6, v7, vcc
	s_cselect_b64 vcc, -1, 0
	s_cmp_eq_u32 s14, 3
	v_cndmask_b32_e32 v12, v12, v8, vcc
	s_cselect_b64 vcc, -1, 0
	s_add_i32 s0, s10, 2
	s_and_b32 s0, s0, 3
	s_cmp_eq_u32 s0, 1
	v_cndmask_b32_e32 v16, v12, v9, vcc
	s_cselect_b64 vcc, -1, 0
	s_cmp_eq_u32 s0, 2
	v_cndmask_b32_e32 v12, v6, v7, vcc
	s_cselect_b64 vcc, -1, 0
	;; [unrolled: 3-line block ×3, first 2 shown]
	s_xor_b32 s0, s14, 2
	v_cndmask_b32_e32 v17, v12, v9, vcc
	s_cmp_eq_u32 s0, 1
	v_pk_mul_f32 v[16:17], v[2:3], v[16:17]
	s_cselect_b64 vcc, -1, 0
	s_cmp_eq_u32 s0, 2
	v_add_f32_e32 v12, 0, v16
	v_cndmask_b32_e32 v16, v6, v7, vcc
	s_cselect_b64 vcc, -1, 0
	s_cmp_eq_u32 s0, 3
	v_add_f32_e32 v17, v12, v17
	v_cndmask_b32_e32 v12, v16, v8, vcc
	s_cselect_b64 vcc, -1, 0
	v_cndmask_b32_e32 v12, v12, v9, vcc
	v_pk_mul_f32 v[12:13], v[4:5], v[12:13]
	s_mov_b64 s[10:11], s[12:13]
	v_add_f32_e32 v12, v17, v12
	v_add_f32_e32 v12, v12, v13
	;; [unrolled: 1-line block ×3, first 2 shown]
	v_mul_f32_e32 v13, 0xbfb8aa3b, v12
	v_fma_f32 v16, v12, s16, -v13
	v_rndne_f32_e32 v17, v13
	v_fmac_f32_e32 v16, 0xb2a5705f, v12
	v_sub_f32_e32 v13, v13, v17
	v_add_f32_e32 v13, v13, v16
	v_cvt_i32_f32_e32 v17, v17
	v_exp_f32_e32 v13, v13
	v_cmp_nlt_f32_e32 vcc, s17, v12
	s_cmp_eq_u64 s[6:7], s[12:13]
	v_ldexp_f32 v13, v13, v17
	v_cndmask_b32_e32 v13, 0, v13, vcc
	v_cmp_ngt_f32_e32 vcc, s18, v12
	s_nop 1
	v_cndmask_b32_e32 v13, v15, v13, vcc
	v_add_f32_e32 v13, 1.0, v13
	v_div_scale_f32 v16, s[0:1], v13, v13, v12
	v_rcp_f32_e32 v17, v16
	v_div_scale_f32 v18, vcc, v12, v13, v12
	v_fma_f32 v19, -v16, v17, 1.0
	v_fmac_f32_e32 v17, v19, v17
	v_mul_f32_e32 v19, v18, v17
	v_fma_f32 v20, -v16, v19, v18
	v_fmac_f32_e32 v19, v20, v17
	v_fma_f32 v16, -v16, v19, v18
	v_div_fmas_f32 v16, v16, v17, v19
	v_div_fixup_f32 v12, v16, v13, v12
	global_store_dword v[10:11], v12, off
	v_lshl_add_u64 v[10:11], v[10:11], 0, s[8:9]
	s_cbranch_scc0 .LBB2_5
.LBB2_6:
	s_endpgm
	.section	.rodata,"a",@progbits
	.p2align	6, 0x0
	.amdhsa_kernel _ZL12ssm_conv_f32ILb1ELm128ELm4EEvPKfS1_S1_iiiiPfiiil
		.amdhsa_group_segment_fixed_size 0
		.amdhsa_private_segment_fixed_size 0
		.amdhsa_kernarg_size 72
		.amdhsa_user_sgpr_count 2
		.amdhsa_user_sgpr_dispatch_ptr 0
		.amdhsa_user_sgpr_queue_ptr 0
		.amdhsa_user_sgpr_kernarg_segment_ptr 1
		.amdhsa_user_sgpr_dispatch_id 0
		.amdhsa_user_sgpr_kernarg_preload_length 0
		.amdhsa_user_sgpr_kernarg_preload_offset 0
		.amdhsa_user_sgpr_private_segment_size 0
		.amdhsa_uses_dynamic_stack 0
		.amdhsa_enable_private_segment 0
		.amdhsa_system_sgpr_workgroup_id_x 1
		.amdhsa_system_sgpr_workgroup_id_y 1
		.amdhsa_system_sgpr_workgroup_id_z 0
		.amdhsa_system_sgpr_workgroup_info 0
		.amdhsa_system_vgpr_workitem_id 0
		.amdhsa_next_free_vgpr 21
		.amdhsa_next_free_sgpr 24
		.amdhsa_accum_offset 24
		.amdhsa_reserve_vcc 1
		.amdhsa_float_round_mode_32 0
		.amdhsa_float_round_mode_16_64 0
		.amdhsa_float_denorm_mode_32 3
		.amdhsa_float_denorm_mode_16_64 3
		.amdhsa_dx10_clamp 1
		.amdhsa_ieee_mode 1
		.amdhsa_fp16_overflow 0
		.amdhsa_tg_split 0
		.amdhsa_exception_fp_ieee_invalid_op 0
		.amdhsa_exception_fp_denorm_src 0
		.amdhsa_exception_fp_ieee_div_zero 0
		.amdhsa_exception_fp_ieee_overflow 0
		.amdhsa_exception_fp_ieee_underflow 0
		.amdhsa_exception_fp_ieee_inexact 0
		.amdhsa_exception_int_div_zero 0
	.end_amdhsa_kernel
	.section	.text._ZL12ssm_conv_f32ILb1ELm128ELm4EEvPKfS1_S1_iiiiPfiiil,"axG",@progbits,_ZL12ssm_conv_f32ILb1ELm128ELm4EEvPKfS1_S1_iiiiPfiiil,comdat
.Lfunc_end2:
	.size	_ZL12ssm_conv_f32ILb1ELm128ELm4EEvPKfS1_S1_iiiiPfiiil, .Lfunc_end2-_ZL12ssm_conv_f32ILb1ELm128ELm4EEvPKfS1_S1_iiiiPfiiil
                                        ; -- End function
	.set _ZL12ssm_conv_f32ILb1ELm128ELm4EEvPKfS1_S1_iiiiPfiiil.num_vgpr, 21
	.set _ZL12ssm_conv_f32ILb1ELm128ELm4EEvPKfS1_S1_iiiiPfiiil.num_agpr, 0
	.set _ZL12ssm_conv_f32ILb1ELm128ELm4EEvPKfS1_S1_iiiiPfiiil.numbered_sgpr, 24
	.set _ZL12ssm_conv_f32ILb1ELm128ELm4EEvPKfS1_S1_iiiiPfiiil.num_named_barrier, 0
	.set _ZL12ssm_conv_f32ILb1ELm128ELm4EEvPKfS1_S1_iiiiPfiiil.private_seg_size, 0
	.set _ZL12ssm_conv_f32ILb1ELm128ELm4EEvPKfS1_S1_iiiiPfiiil.uses_vcc, 1
	.set _ZL12ssm_conv_f32ILb1ELm128ELm4EEvPKfS1_S1_iiiiPfiiil.uses_flat_scratch, 0
	.set _ZL12ssm_conv_f32ILb1ELm128ELm4EEvPKfS1_S1_iiiiPfiiil.has_dyn_sized_stack, 0
	.set _ZL12ssm_conv_f32ILb1ELm128ELm4EEvPKfS1_S1_iiiiPfiiil.has_recursion, 0
	.set _ZL12ssm_conv_f32ILb1ELm128ELm4EEvPKfS1_S1_iiiiPfiiil.has_indirect_call, 0
	.section	.AMDGPU.csdata,"",@progbits
; Kernel info:
; codeLenInByte = 1132
; TotalNumSgprs: 30
; NumVgprs: 21
; NumAgprs: 0
; TotalNumVgprs: 21
; ScratchSize: 0
; MemoryBound: 0
; FloatMode: 240
; IeeeMode: 1
; LDSByteSize: 0 bytes/workgroup (compile time only)
; SGPRBlocks: 3
; VGPRBlocks: 2
; NumSGPRsForWavesPerEU: 30
; NumVGPRsForWavesPerEU: 21
; AccumOffset: 24
; Occupancy: 8
; WaveLimiterHint : 0
; COMPUTE_PGM_RSRC2:SCRATCH_EN: 0
; COMPUTE_PGM_RSRC2:USER_SGPR: 2
; COMPUTE_PGM_RSRC2:TRAP_HANDLER: 0
; COMPUTE_PGM_RSRC2:TGID_X_EN: 1
; COMPUTE_PGM_RSRC2:TGID_Y_EN: 1
; COMPUTE_PGM_RSRC2:TGID_Z_EN: 0
; COMPUTE_PGM_RSRC2:TIDIG_COMP_CNT: 0
; COMPUTE_PGM_RSRC3_GFX90A:ACCUM_OFFSET: 5
; COMPUTE_PGM_RSRC3_GFX90A:TG_SPLIT: 0
	.section	.text._ZL23ssm_conv_long_token_f32ILb1ELm128ELm4ELl32EEvPKfS1_S1_iiiiPfiiil,"axG",@progbits,_ZL23ssm_conv_long_token_f32ILb1ELm128ELm4ELl32EEvPKfS1_S1_iiiiPfiiil,comdat
	.globl	_ZL23ssm_conv_long_token_f32ILb1ELm128ELm4ELl32EEvPKfS1_S1_iiiiPfiiil ; -- Begin function _ZL23ssm_conv_long_token_f32ILb1ELm128ELm4ELl32EEvPKfS1_S1_iiiiPfiiil
	.p2align	8
	.type	_ZL23ssm_conv_long_token_f32ILb1ELm128ELm4ELl32EEvPKfS1_S1_iiiiPfiiil,@function
_ZL23ssm_conv_long_token_f32ILb1ELm128ELm4ELl32EEvPKfS1_S1_iiiiPfiiil: ; @_ZL23ssm_conv_long_token_f32ILb1ELm128ELm4ELl32EEvPKfS1_S1_iiiiPfiiil
; %bb.0:
	s_load_dwordx4 s[8:11], s[0:1], 0x18
	s_load_dwordx2 s[12:13], s[0:1], 0x0
	s_mov_b32 s6, s3
	v_mul_u32_u24_e32 v1, 0x751, v0
	v_lshrrev_b32_e32 v1, 16, v1
	s_waitcnt lgkmcnt(0)
	s_mul_i32 s3, s10, s2
	s_ashr_i32 s5, s3, 31
	s_add_u32 s3, s12, s3
	s_addc_u32 s5, s13, s5
	s_ashr_i32 s7, s6, 31
	s_lshl_b64 s[12:13], s[6:7], 7
	s_ashr_i32 s10, s9, 31
	s_mul_i32 s10, s12, s10
	s_mul_hi_u32 s14, s12, s9
	s_lshr_b64 s[6:7], s[6:7], 25
	s_add_i32 s10, s14, s10
	s_mul_i32 s6, s6, s9
	s_add_i32 s10, s10, s6
	s_mul_i32 s6, s12, s9
	s_add_u32 s3, s3, s6
	s_addc_u32 s6, s5, s10
	s_ashr_i32 s5, s4, 31
	s_lshl_b64 s[14:15], s[4:5], 5
	s_ashr_i32 s7, s8, 31
	s_mul_i32 s7, s14, s7
	s_mul_hi_u32 s10, s14, s8
	s_lshr_b64 s[4:5], s[4:5], 27
	s_add_i32 s7, s10, s7
	s_mul_i32 s4, s4, s8
	s_add_i32 s7, s7, s4
	s_mul_i32 s4, s14, s8
	s_add_u32 s16, s3, s4
	v_mul_lo_u16_e32 v2, 35, v1
	s_addc_u32 s17, s6, s7
	s_ashr_i32 s3, s9, 2
	v_sub_u16_e32 v2, v0, v2
	v_mad_u64_u32 v[4:5], s[4:5], s3, v1, v[2:3]
	v_ashrrev_i32_e32 v5, 31, v4
	v_lshl_add_u64 v[4:5], v[4:5], 2, s[16:17]
	global_load_dword v13, v[4:5], off
	v_or_b32_e32 v3, 0x80, v2
	v_mul_lo_u16_e32 v4, 0xeb, v3
	v_lshrrev_b16_e32 v4, 13, v4
	v_add_u32_e32 v22, v1, v4
	v_mul_lo_u16_e32 v4, 35, v4
	v_sub_u16_e32 v3, v3, v4
	v_and_b32_e32 v8, 0xff, v3
	v_or_b32_e32 v3, 0x80, v8
	v_mul_lo_u16_e32 v6, 0xeb, v3
	v_lshrrev_b16_e32 v6, 13, v6
	v_add_u32_e32 v23, v22, v6
	v_mul_lo_u16_e32 v6, 35, v6
	v_sub_u16_e32 v3, v3, v6
	v_and_b32_e32 v10, 0xff, v3
	v_or_b32_e32 v3, 0x80, v10
	v_mad_u64_u32 v[4:5], s[4:5], v22, s3, v[8:9]
	v_mul_lo_u16_e32 v9, 0xeb, v3
	v_lshrrev_b16_e32 v9, 13, v9
	v_add_u32_e32 v24, v23, v9
	v_mul_lo_u16_e32 v9, 35, v9
	v_sub_u16_e32 v3, v3, v9
	v_and_b32_e32 v12, 0xff, v3
	v_ashrrev_i32_e32 v5, 31, v4
	v_mad_u64_u32 v[6:7], s[4:5], v23, s3, v[10:11]
	v_lshl_add_u64 v[4:5], v[4:5], 2, s[16:17]
	v_ashrrev_i32_e32 v7, 31, v6
	v_or_b32_e32 v3, 0x80, v12
	v_lshl_add_u64 v[6:7], v[6:7], 2, s[16:17]
	v_mul_u32_u24_e32 v1, 0x8c, v1
	v_lshlrev_b32_e32 v2, 2, v2
	v_add3_u32 v29, 0, v1, v2
	v_lshlrev_b32_e32 v8, 2, v8
	v_lshlrev_b32_e32 v10, 2, v10
	s_movk_i32 s7, 0x8c
	s_movk_i32 s6, 0x80
	s_waitcnt vmcnt(0)
	v_mad_u64_u32 v[14:15], s[4:5], v24, s3, v[12:13]
	v_ashrrev_i32_e32 v15, 31, v14
	v_lshl_add_u64 v[14:15], v[14:15], 2, s[16:17]
	global_load_dword v25, v[4:5], off
	global_load_dword v26, v[6:7], off
	;; [unrolled: 1-line block ×3, first 2 shown]
	v_mul_lo_u16_e32 v4, 0xeb, v3
	v_lshrrev_b16_e32 v4, 13, v4
	v_add_u32_e32 v15, v24, v4
	v_mul_lo_u16_e32 v4, 35, v4
	v_sub_u16_e32 v3, v3, v4
	v_and_b32_e32 v14, 0xff, v3
	v_or_b32_e32 v2, 0x80, v14
	v_mul_lo_u16_e32 v1, 0xeb, v2
	v_lshrrev_b16_e32 v3, 13, v1
	v_mad_u64_u32 v[4:5], s[4:5], v15, s3, v[14:15]
	v_add_u32_e32 v1, v15, v3
	v_mul_lo_u16_e32 v3, 35, v3
	v_ashrrev_i32_e32 v5, 31, v4
	v_sub_u16_e32 v2, v2, v3
	v_lshl_add_u64 v[4:5], v[4:5], 2, s[16:17]
	v_and_b32_e32 v2, 0xff, v2
	global_load_dword v28, v[4:5], off
	v_mad_u64_u32 v[4:5], s[4:5], v1, s3, v[2:3]
	v_ashrrev_i32_e32 v5, 31, v4
	v_lshl_add_u64 v[16:17], v[4:5], 2, s[16:17]
	v_or_b32_e32 v4, 0x80, v2
	v_mul_lo_u16_e32 v3, 0xeb, v4
	v_lshrrev_b16_e32 v5, 13, v3
	v_add_u32_e32 v3, v1, v5
	v_mul_lo_u16_e32 v5, 35, v5
	v_sub_u16_e32 v4, v4, v5
	v_and_b32_e32 v4, 0xff, v4
	v_mad_u64_u32 v[6:7], s[4:5], v3, s3, v[4:5]
	v_ashrrev_i32_e32 v7, 31, v6
	v_lshl_add_u64 v[18:19], v[6:7], 2, s[16:17]
	v_or_b32_e32 v6, 0x80, v4
	v_mul_lo_u16_e32 v5, 0xeb, v6
	v_lshrrev_b16_e32 v7, 13, v5
	v_add_u32_e32 v5, v3, v7
	v_mul_lo_u16_e32 v7, 35, v7
	v_sub_u16_e32 v6, v6, v7
	v_and_b32_e32 v6, 0xff, v6
	v_mad_u64_u32 v[20:21], s[4:5], v5, s3, v[6:7]
	v_ashrrev_i32_e32 v21, 31, v20
	v_lshl_add_u64 v[20:21], v[20:21], 2, s[16:17]
	global_load_dword v11, v[16:17], off
	global_load_dword v9, v[18:19], off
	global_load_dword v7, v[20:21], off
	ds_write_b32 v29, v13
	v_mul_u32_u24_e32 v13, 0x8c, v22
	v_add3_u32 v8, 0, v13, v8
	v_lshlrev_b32_e32 v2, 2, v2
	v_mul_u32_u24_e32 v1, 0x8c, v1
	v_add3_u32 v1, 0, v1, v2
	v_lshlrev_b32_e32 v2, 2, v4
	s_waitcnt vmcnt(6)
	ds_write_b32 v8, v25
	v_mul_u32_u24_e32 v8, 0x8c, v23
	v_add3_u32 v8, 0, v8, v10
	s_waitcnt vmcnt(5)
	ds_write_b32 v8, v26
	v_mul_u32_u24_e32 v8, 0x8c, v24
	v_lshlrev_b32_e32 v10, 2, v12
	v_add3_u32 v8, 0, v8, v10
	s_waitcnt vmcnt(4)
	ds_write_b32 v8, v27
	v_mul_u32_u24_e32 v8, 0x8c, v15
	v_lshlrev_b32_e32 v10, 2, v14
	v_add3_u32 v8, 0, v8, v10
	s_waitcnt vmcnt(3)
	ds_write_b32 v8, v28
	v_or_b32_e32 v8, 0x80, v6
	v_mul_lo_u16_e32 v10, 0xeb, v8
	v_lshrrev_b16_e32 v10, 13, v10
	v_add_u32_e32 v40, v5, v10
	v_mul_lo_u16_e32 v10, 35, v10
	v_sub_u16_e32 v8, v8, v10
	v_and_b32_e32 v8, 0xff, v8
	v_or_b32_e32 v10, 0x80, v8
	s_waitcnt vmcnt(1)
	v_mad_u64_u32 v[12:13], s[4:5], v40, s3, v[8:9]
	v_ashrrev_i32_e32 v13, 31, v12
	v_lshl_add_u64 v[24:25], v[12:13], 2, s[16:17]
	v_mul_lo_u16_e32 v12, 0xeb, v10
	v_lshrrev_b16_e32 v12, 13, v12
	v_add_u32_e32 v41, v40, v12
	v_mul_lo_u16_e32 v12, 35, v12
	v_sub_u16_e32 v10, v10, v12
	v_and_b32_e32 v10, 0xff, v10
	v_mad_u64_u32 v[12:13], s[4:5], v41, s3, v[10:11]
	v_ashrrev_i32_e32 v13, 31, v12
	v_lshl_add_u64 v[26:27], v[12:13], 2, s[16:17]
	v_or_b32_e32 v12, 0x80, v10
	v_mul_lo_u16_e32 v13, 0xeb, v12
	v_lshrrev_b16_e32 v13, 13, v13
	v_add_u32_e32 v42, v41, v13
	v_mul_lo_u16_e32 v13, 35, v13
	v_sub_u16_e32 v12, v12, v13
	v_and_b32_e32 v12, 0xff, v12
	v_mad_u64_u32 v[14:15], s[4:5], v42, s3, v[12:13]
	v_ashrrev_i32_e32 v15, 31, v14
	v_or_b32_e32 v13, 0x80, v12
	v_lshl_add_u64 v[28:29], v[14:15], 2, s[16:17]
	v_mul_lo_u16_e32 v14, 0xeb, v13
	v_lshrrev_b16_e32 v14, 13, v14
	v_add_u32_e32 v15, v42, v14
	v_mul_lo_u16_e32 v14, 35, v14
	v_sub_u16_e32 v13, v13, v14
	v_and_b32_e32 v14, 0xff, v13
	v_mad_u64_u32 v[16:17], s[4:5], v15, s3, v[14:15]
	v_ashrrev_i32_e32 v17, 31, v16
	v_or_b32_e32 v13, 0x80, v14
	v_lshl_add_u64 v[30:31], v[16:17], 2, s[16:17]
	;; [unrolled: 10-line block ×5, first 2 shown]
	v_mul_lo_u16_e32 v22, 0xeb, v13
	v_lshrrev_b16_e32 v22, 13, v22
	v_add_u32_e32 v23, v21, v22
	v_mul_lo_u16_e32 v22, 35, v22
	v_sub_u16_e32 v13, v13, v22
	v_and_b32_e32 v22, 0xff, v13
	v_mad_u64_u32 v[38:39], s[4:5], v23, s3, v[22:23]
	v_ashrrev_i32_e32 v39, 31, v38
	v_lshl_add_u64 v[38:39], v[38:39], 2, s[16:17]
	global_load_dword v13, v[24:25], off
	global_load_dword v43, v[26:27], off
	;; [unrolled: 1-line block ×8, first 2 shown]
	v_or_b32_e32 v24, 0x80, v22
	v_mul_lo_u16_e32 v25, 0xeb, v24
	v_lshrrev_b16_e32 v25, 13, v25
	v_add_u32_e32 v29, v23, v25
	v_mul_lo_u16_e32 v25, 35, v25
	v_sub_u16_e32 v24, v24, v25
	v_and_b32_e32 v24, 0xff, v24
	v_mad_u64_u32 v[26:27], s[4:5], v29, s3, v[24:25]
	v_or_b32_e32 v25, 0x80, v24
	v_mul_lo_u16_e32 v28, 0xeb, v25
	v_lshrrev_b16_e32 v28, 13, v28
	v_add_u32_e32 v33, v29, v28
	v_mul_lo_u16_e32 v28, 35, v28
	v_sub_u16_e32 v25, v25, v28
	v_and_b32_e32 v28, 0xff, v25
	v_or_b32_e32 v25, 0x80, v28
	v_mul_lo_u16_e32 v32, 0xeb, v25
	v_lshrrev_b16_e32 v32, 13, v32
	v_add_u32_e32 v36, v33, v32
	v_mul_lo_u16_e32 v32, 35, v32
	v_sub_u16_e32 v25, v25, v32
	v_and_b32_e32 v32, 0xff, v25
	v_ashrrev_i32_e32 v27, 31, v26
	v_mad_u64_u32 v[30:31], s[4:5], v33, s3, v[28:29]
	v_mad_u64_u32 v[34:35], s[4:5], v36, s3, v[32:33]
	v_lshl_add_u64 v[26:27], v[26:27], 2, s[16:17]
	v_ashrrev_i32_e32 v31, 31, v30
	v_ashrrev_i32_e32 v35, 31, v34
	v_lshl_add_u64 v[30:31], v[30:31], 2, s[16:17]
	v_lshl_add_u64 v[34:35], v[34:35], 2, s[16:17]
	global_load_dword v25, v[26:27], off
	global_load_dword v37, v[30:31], off
	global_load_dword v38, v[34:35], off
	v_or_b32_e32 v26, 0x80, v32
	v_mul_lo_u16_e32 v27, 0xeb, v26
	v_lshrrev_b16_e32 v27, 13, v27
	v_add_u32_e32 v34, v36, v27
	v_mul_lo_u16_e32 v27, 35, v27
	v_sub_u16_e32 v26, v26, v27
	v_and_b32_e32 v26, 0xff, v26
	v_mad_u64_u32 v[30:31], s[4:5], v34, s3, v[26:27]
	v_ashrrev_i32_e32 v31, 31, v30
	v_lshl_add_u64 v[30:31], v[30:31], 2, s[16:17]
	global_load_dword v27, v[30:31], off
	ds_write_b32 v1, v11
	v_mul_lo_u32 v1, v3, s7
	v_add3_u32 v1, 0, v1, v2
	ds_write_b32 v1, v9
	v_mul_lo_u32 v1, v5, s7
	v_lshlrev_b32_e32 v2, 2, v6
	v_add3_u32 v1, 0, v1, v2
	s_waitcnt vmcnt(12)
	ds_write_b32 v1, v7
	v_mul_lo_u32 v1, v40, s7
	v_lshlrev_b32_e32 v2, 2, v8
	v_add3_u32 v1, 0, v1, v2
	v_lshlrev_b32_e32 v2, 2, v10
	s_waitcnt vmcnt(11)
	ds_write_b32 v1, v13
	v_mul_lo_u32 v1, v41, s7
	v_add3_u32 v1, 0, v1, v2
	s_waitcnt vmcnt(10)
	ds_write_b32 v1, v43
	v_mul_lo_u32 v1, v42, s7
	v_lshlrev_b32_e32 v2, 2, v12
	v_add3_u32 v1, 0, v1, v2
	s_waitcnt vmcnt(9)
	ds_write_b32 v1, v44
	v_mul_lo_u32 v1, v15, s7
	v_lshlrev_b32_e32 v2, 2, v14
	;; [unrolled: 5-line block ×7, first 2 shown]
	v_add3_u32 v1, 0, v1, v2
	v_lshlrev_b32_e32 v2, 2, v28
	s_waitcnt vmcnt(3)
	ds_write_b32 v1, v25
	v_mul_lo_u32 v1, v33, s7
	v_add3_u32 v1, 0, v1, v2
	s_waitcnt vmcnt(2)
	ds_write_b32 v1, v37
	v_mul_lo_u32 v1, v36, s7
	v_lshlrev_b32_e32 v2, 2, v32
	v_add3_u32 v1, 0, v1, v2
	s_waitcnt vmcnt(1)
	ds_write_b32 v1, v38
	v_mul_lo_u32 v1, v34, s7
	v_lshlrev_b32_e32 v2, 2, v26
	v_add3_u32 v1, 0, v1, v2
	v_or_b32_e32 v2, 0x80, v26
	s_waitcnt vmcnt(0)
	ds_write_b32 v1, v27
	v_mul_lo_u16_e32 v1, 0xeb, v2
	v_lshrrev_b16_e32 v3, 13, v1
	v_add_u32_e32 v1, v34, v3
	v_mul_lo_u16_e32 v3, 35, v3
	v_sub_u16_e32 v2, v2, v3
	v_and_b32_e32 v2, 0xff, v2
	v_cmp_gt_u32_e32 vcc, s6, v1
	s_and_saveexec_b64 s[4:5], vcc
	s_cbranch_execz .LBB3_2
; %bb.1:
	v_mad_u64_u32 v[4:5], s[8:9], v1, s3, v[2:3]
	v_ashrrev_i32_e32 v5, 31, v4
	v_lshl_add_u64 v[4:5], v[4:5], 2, s[16:17]
	global_load_dword v3, v[4:5], off
	v_mul_lo_u32 v4, v1, s7
	v_lshlrev_b32_e32 v5, 2, v2
	v_add3_u32 v4, 0, v4, v5
	s_waitcnt vmcnt(0)
	ds_write_b32 v4, v3
.LBB3_2:
	s_or_b64 exec, exec, s[4:5]
	v_or_b32_e32 v2, 0x80, v2
	v_mul_lo_u16_e32 v3, 0xeb, v2
	v_lshrrev_b16_e32 v3, 13, v3
	v_add_u32_e32 v1, v1, v3
	v_mul_lo_u16_e32 v3, 35, v3
	v_sub_u16_e32 v2, v2, v3
	v_and_b32_e32 v2, 0xff, v2
	v_cmp_gt_u32_e32 vcc, s6, v1
	s_and_saveexec_b64 s[4:5], vcc
	s_cbranch_execz .LBB3_4
; %bb.3:
	v_mad_u64_u32 v[4:5], s[6:7], v1, s3, v[2:3]
	v_ashrrev_i32_e32 v5, 31, v4
	v_lshl_add_u64 v[4:5], v[4:5], 2, s[16:17]
	global_load_dword v3, v[4:5], off
	s_movk_i32 s6, 0x8c
	v_mul_lo_u32 v4, v1, s6
	v_lshlrev_b32_e32 v5, 2, v2
	v_add3_u32 v4, 0, v4, v5
	s_waitcnt vmcnt(0)
	ds_write_b32 v4, v3
.LBB3_4:
	s_or_b64 exec, exec, s[4:5]
	v_or_b32_e32 v2, 0x80, v2
	v_mul_lo_u16_e32 v3, 0xeb, v2
	v_lshrrev_b16_e32 v3, 13, v3
	v_add_u32_e32 v1, v1, v3
	v_mul_lo_u16_e32 v3, 35, v3
	s_movk_i32 s6, 0x80
	v_sub_u16_e32 v2, v2, v3
	v_and_b32_e32 v2, 0xff, v2
	v_cmp_gt_u32_e32 vcc, s6, v1
	s_and_saveexec_b64 s[4:5], vcc
	s_cbranch_execz .LBB3_6
; %bb.5:
	v_mad_u64_u32 v[4:5], s[8:9], v1, s3, v[2:3]
	v_ashrrev_i32_e32 v5, 31, v4
	v_lshl_add_u64 v[4:5], v[4:5], 2, s[16:17]
	global_load_dword v3, v[4:5], off
	s_movk_i32 s7, 0x8c
	v_mul_lo_u32 v4, v1, s7
	v_lshlrev_b32_e32 v5, 2, v2
	v_add3_u32 v4, 0, v4, v5
	s_waitcnt vmcnt(0)
	ds_write_b32 v4, v3
.LBB3_6:
	s_or_b64 exec, exec, s[4:5]
	v_or_b32_e32 v2, 0x80, v2
	v_mul_lo_u16_e32 v3, 0xeb, v2
	v_lshrrev_b16_e32 v3, 13, v3
	v_add_u32_e32 v1, v1, v3
	v_mul_lo_u16_e32 v3, 35, v3
	v_sub_u16_e32 v2, v2, v3
	v_and_b32_e32 v2, 0xff, v2
	v_cmp_gt_u32_e32 vcc, s6, v1
	s_and_saveexec_b64 s[4:5], vcc
	s_cbranch_execz .LBB3_8
; %bb.7:
	v_mad_u64_u32 v[4:5], s[6:7], v1, s3, v[2:3]
	v_ashrrev_i32_e32 v5, 31, v4
	v_lshl_add_u64 v[4:5], v[4:5], 2, s[16:17]
	global_load_dword v3, v[4:5], off
	s_movk_i32 s6, 0x8c
	v_mul_lo_u32 v4, v1, s6
	v_lshlrev_b32_e32 v5, 2, v2
	v_add3_u32 v4, 0, v4, v5
	s_waitcnt vmcnt(0)
	ds_write_b32 v4, v3
.LBB3_8:
	s_or_b64 exec, exec, s[4:5]
	v_or_b32_e32 v2, 0x80, v2
	v_mul_lo_u16_e32 v3, 0xeb, v2
	v_lshrrev_b16_e32 v3, 13, v3
	v_add_u32_e32 v1, v1, v3
	v_mul_lo_u16_e32 v3, 35, v3
	s_movk_i32 s6, 0x80
	v_sub_u16_e32 v2, v2, v3
	v_and_b32_e32 v2, 0xff, v2
	v_cmp_gt_u32_e32 vcc, s6, v1
	s_and_saveexec_b64 s[4:5], vcc
	s_cbranch_execz .LBB3_10
; %bb.9:
	v_mad_u64_u32 v[4:5], s[8:9], v1, s3, v[2:3]
	v_ashrrev_i32_e32 v5, 31, v4
	v_lshl_add_u64 v[4:5], v[4:5], 2, s[16:17]
	global_load_dword v3, v[4:5], off
	s_movk_i32 s7, 0x8c
	v_mul_lo_u32 v4, v1, s7
	v_lshlrev_b32_e32 v5, 2, v2
	v_add3_u32 v4, 0, v4, v5
	s_waitcnt vmcnt(0)
	ds_write_b32 v4, v3
.LBB3_10:
	;; [unrolled: 47-line block ×3, first 2 shown]
	s_or_b64 exec, exec, s[4:5]
	v_or_b32_e32 v2, 0x80, v2
	v_mul_lo_u16_e32 v3, 0xeb, v2
	v_lshrrev_b16_e32 v3, 13, v3
	v_add_u32_e32 v1, v1, v3
	v_mul_lo_u16_e32 v3, 35, v3
	v_sub_u16_e32 v2, v2, v3
	v_and_b32_e32 v2, 0xff, v2
	v_cmp_gt_u32_e32 vcc, s6, v1
	s_and_saveexec_b64 s[4:5], vcc
	s_cbranch_execz .LBB3_16
; %bb.15:
	v_mad_u64_u32 v[4:5], s[6:7], v1, s3, v[2:3]
	v_ashrrev_i32_e32 v5, 31, v4
	v_lshl_add_u64 v[4:5], v[4:5], 2, s[16:17]
	global_load_dword v3, v[4:5], off
	s_movk_i32 s6, 0x8c
	v_mul_lo_u32 v4, v1, s6
	v_lshlrev_b32_e32 v5, 2, v2
	v_add3_u32 v4, 0, v4, v5
	s_waitcnt vmcnt(0)
	ds_write_b32 v4, v3
.LBB3_16:
	s_or_b64 exec, exec, s[4:5]
	s_load_dwordx4 s[4:7], s[0:1], 0x8
	s_load_dwordx2 s[8:9], s[0:1], 0x28
	s_movk_i32 s10, 0x380
	v_cmp_gt_u32_e32 vcc, s10, v0
	s_and_saveexec_b64 s[18:19], vcc
	s_cbranch_execz .LBB3_37
; %bb.17:
	v_or_b32_e32 v2, 0x80, v2
	v_mul_lo_u16_e32 v3, 0xeb, v2
	v_lshrrev_b16_e32 v3, 13, v3
	v_add_u32_e32 v1, v1, v3
	v_mul_lo_u16_e32 v3, 35, v3
	s_movk_i32 s10, 0x80
	v_sub_u16_e32 v2, v2, v3
	v_and_b32_e32 v2, 0xff, v2
	v_cmp_gt_u32_e32 vcc, s10, v1
	s_and_saveexec_b64 s[20:21], vcc
	s_cbranch_execz .LBB3_19
; %bb.18:
	v_mad_u64_u32 v[4:5], s[22:23], v1, s3, v[2:3]
	v_ashrrev_i32_e32 v5, 31, v4
	v_lshl_add_u64 v[4:5], v[4:5], 2, s[16:17]
	global_load_dword v3, v[4:5], off
	s_movk_i32 s10, 0x8c
	v_mul_lo_u32 v4, v1, s10
	v_lshlrev_b32_e32 v5, 2, v2
	v_add3_u32 v4, 0, v4, v5
	s_waitcnt vmcnt(0)
	ds_write_b32 v4, v3
.LBB3_19:
	s_or_b64 exec, exec, s[20:21]
	s_movk_i32 s10, 0x300
	v_cmp_gt_u32_e32 vcc, s10, v0
	s_and_b64 exec, exec, vcc
	s_cbranch_execz .LBB3_37
; %bb.20:
	v_or_b32_e32 v2, 0x80, v2
	v_mul_lo_u16_e32 v3, 0xeb, v2
	v_lshrrev_b16_e32 v3, 13, v3
	v_add_u32_e32 v1, v1, v3
	v_mul_lo_u16_e32 v3, 35, v3
	s_movk_i32 s10, 0x80
	v_sub_u16_e32 v2, v2, v3
	v_and_b32_e32 v2, 0xff, v2
	v_cmp_gt_u32_e32 vcc, s10, v1
	s_and_saveexec_b64 s[20:21], vcc
	s_cbranch_execz .LBB3_22
; %bb.21:
	v_mad_u64_u32 v[4:5], s[22:23], v1, s3, v[2:3]
	v_ashrrev_i32_e32 v5, 31, v4
	v_lshl_add_u64 v[4:5], v[4:5], 2, s[16:17]
	global_load_dword v3, v[4:5], off
	s_movk_i32 s10, 0x8c
	v_mul_lo_u32 v4, v1, s10
	v_lshlrev_b32_e32 v5, 2, v2
	v_add3_u32 v4, 0, v4, v5
	s_waitcnt vmcnt(0)
	ds_write_b32 v4, v3
.LBB3_22:
	s_or_b64 exec, exec, s[20:21]
	s_movk_i32 s10, 0x280
	v_cmp_gt_u32_e32 vcc, s10, v0
	s_and_b64 exec, exec, vcc
	;; [unrolled: 29-line block ×5, first 2 shown]
	s_cbranch_execz .LBB3_37
; %bb.32:
	v_or_b32_e32 v2, 0x80, v2
	v_mul_lo_u16_e32 v3, 0xeb, v2
	v_lshrrev_b16_e32 v3, 13, v3
	v_add_u32_e32 v1, v1, v3
	v_mul_lo_u16_e32 v3, 35, v3
	s_movk_i32 s10, 0x80
	v_sub_u16_e32 v2, v2, v3
	v_and_b32_e32 v2, 0xff, v2
	v_cmp_gt_u32_e32 vcc, s10, v1
	s_and_saveexec_b64 s[20:21], vcc
	s_cbranch_execz .LBB3_34
; %bb.33:
	v_mad_u64_u32 v[4:5], s[22:23], v1, s3, v[2:3]
	v_ashrrev_i32_e32 v5, 31, v4
	v_lshl_add_u64 v[4:5], v[4:5], 2, s[16:17]
	global_load_dword v3, v[4:5], off
	s_movk_i32 s22, 0x8c
	v_mul_lo_u32 v4, v1, s22
	v_lshlrev_b32_e32 v5, 2, v2
	v_add3_u32 v4, 0, v4, v5
	s_waitcnt vmcnt(0)
	ds_write_b32 v4, v3
.LBB3_34:
	s_or_b64 exec, exec, s[20:21]
	v_cmp_gt_u32_e32 vcc, s10, v0
	s_and_b64 exec, exec, vcc
	s_cbranch_execz .LBB3_37
; %bb.35:
	v_or_b32_e32 v2, 0x80, v2
	v_mul_lo_u16_e32 v3, 0xeb, v2
	v_lshrrev_b16_e32 v3, 13, v3
	v_add_u32_e32 v1, v1, v3
	v_cmp_gt_u32_e32 vcc, s10, v1
	s_and_b64 exec, exec, vcc
	s_cbranch_execz .LBB3_37
; %bb.36:
	v_mul_lo_u16_e32 v3, 35, v3
	v_sub_u16_e32 v2, v2, v3
	v_and_b32_e32 v2, 0xff, v2
	v_mad_u64_u32 v[4:5], s[20:21], v1, s3, v[2:3]
	v_ashrrev_i32_e32 v5, 31, v4
	v_lshl_add_u64 v[4:5], v[4:5], 2, s[16:17]
	global_load_dword v3, v[4:5], off
	s_movk_i32 s3, 0x8c
	v_mul_lo_u32 v1, v1, s3
	v_lshlrev_b32_e32 v2, 2, v2
	v_add3_u32 v1, 0, v1, v2
	s_waitcnt vmcnt(0)
	ds_write_b32 v1, v3
.LBB3_37:
	s_or_b64 exec, exec, s[18:19]
	s_ashr_i32 s3, s11, 31
	s_mul_hi_u32 s10, s12, s11
	s_mul_i32 s3, s12, s3
	s_add_i32 s3, s10, s3
	s_mul_i32 s10, s13, s11
	s_add_i32 s3, s3, s10
	s_mul_i32 s10, s12, s11
	s_waitcnt lgkmcnt(0)
	s_add_u32 s4, s4, s10
	s_addc_u32 s5, s5, s3
	s_ashr_i32 s3, s11, 2
	v_mul_lo_u32 v2, s3, v0
	v_ashrrev_i32_e32 v3, 31, v2
	v_lshl_add_u64 v[2:3], v[2:3], 2, s[4:5]
	s_barrier
	global_load_dwordx4 v[2:5], v[2:3], off
	s_cmp_eq_u64 s[6:7], 0
	v_lshlrev_b32_e32 v8, 2, v0
	s_cbranch_scc1 .LBB3_39
; %bb.38:
	s_lshl_b64 s[4:5], s[12:13], 2
	s_add_u32 s4, s6, s4
	s_addc_u32 s5, s7, s5
	global_load_dword v6, v8, s[4:5]
	s_branch .LBB3_40
.LBB3_39:
	v_mov_b32_e32 v6, 0
.LBB3_40:
	s_load_dwordx2 s[4:5], s[0:1], 0x40
	s_waitcnt lgkmcnt(0)
	s_sub_u32 s10, s4, s14
	s_subb_u32 s11, s5, s15
	v_cmp_lt_i64_e64 s[4:5], s[10:11], 1
	s_and_b64 vcc, exec, s[4:5]
	s_cbranch_vccnz .LBB3_48
; %bb.41:
	s_load_dwordx4 s[4:7], s[0:1], 0x30
	v_mul_u32_u24_e32 v20, 0x8c, v0
	v_mov_b32_e32 v9, 0
	s_waitcnt lgkmcnt(0)
	s_ashr_i32 s0, s5, 31
	s_mul_hi_u32 s1, s14, s5
	s_mul_i32 s0, s14, s0
	s_add_i32 s17, s1, s0
	s_ashr_i32 s0, s4, 31
	s_mul_hi_u32 s1, s12, s4
	s_mul_i32 s0, s12, s0
	s_mul_i32 s16, s6, s2
	;; [unrolled: 1-line block ×3, first 2 shown]
	s_add_i32 s0, s1, s0
	s_mul_i32 s1, s13, s4
	s_ashr_i32 s15, s16, 31
	s_add_i32 s17, s17, s2
	s_add_i32 s13, s0, s1
	s_ashr_i32 s2, s5, 2
	v_cmp_lt_u64_e64 s[0:1], s[10:11], 32
	s_and_b64 s[0:1], s[0:1], exec
	s_cselect_b32 s7, s11, 0
	s_cselect_b32 s6, s10, 32
	s_cmp_eq_u64 s[10:11], 1
	s_cselect_b64 s[0:1], -1, 0
	s_cmp_lg_u32 s2, 1
	s_cselect_b64 s[10:11], -1, 0
	s_or_b64 s[0:1], s[0:1], s[10:11]
	s_mul_i32 s14, s14, s5
	s_mul_i32 s12, s12, s4
	s_mov_b32 s5, 0
	s_and_b64 vcc, exec, s[0:1]
	s_cbranch_vccnz .LBB3_45
; %bb.42:
	s_add_u32 s0, s8, s16
	s_addc_u32 s1, s9, s15
	v_add_u32_e32 v21, 0, v20
	s_add_u32 s0, s0, s14
	ds_read2_b32 v[18:19], v21 offset1:1
	s_addc_u32 s1, s1, s17
	s_add_u32 s0, s0, s12
	s_addc_u32 s1, s1, s13
	s_and_b32 s4, s6, 62
	v_lshl_add_u64 v[0:1], s[0:1], 0, v[8:9]
	s_waitcnt vmcnt(0)
	v_mov_b32_e32 v10, v2
	v_mov_b32_e32 v11, v2
	;; [unrolled: 1-line block ×9, first 2 shown]
	s_mov_b32 s3, 0xbfb8aa3b
	s_mov_b32 s18, 0x42ce8ed0
	s_mov_b32 s19, 0xc2b17218
	v_mov_b32_e32 v9, 0x7f800000
	s_mov_b64 s[10:11], s[4:5]
.LBB3_43:                               ; =>This Inner Loop Header: Depth=1
	s_waitcnt lgkmcnt(0)
	v_pk_fma_f32 v[22:23], v[10:11], v[18:19], 0 op_sel_hi:[1,1,0]
	ds_read2_b32 v[24:25], v21 offset0:1 offset1:2
	ds_read2_b32 v[18:19], v21 offset0:2 offset1:3
	;; [unrolled: 1-line block ×3, first 2 shown]
	v_add_u32_e32 v28, 8, v21
	v_mov_b32_e32 v21, v28
	s_waitcnt lgkmcnt(2)
	v_pk_fma_f32 v[22:23], v[12:13], v[24:25], v[22:23]
	s_add_u32 s10, s10, -2
	s_waitcnt lgkmcnt(1)
	v_pk_fma_f32 v[22:23], v[14:15], v[18:19], v[22:23]
	s_addc_u32 s11, s11, -1
	s_waitcnt lgkmcnt(0)
	v_pk_fma_f32 v[22:23], v[16:17], v[26:27], v[22:23]
	s_cmp_lg_u64 s[10:11], 0
	v_pk_add_f32 v[22:23], v[6:7], v[22:23]
	s_nop 0
	v_mul_f32_e32 v24, 0xbfb8aa3b, v23
	v_mul_f32_e32 v25, 0xbfb8aa3b, v22
	v_fma_f32 v26, v23, s3, -v24
	v_rndne_f32_e32 v27, v24
	v_fma_f32 v28, v22, s3, -v25
	v_rndne_f32_e32 v29, v25
	v_fmac_f32_e32 v26, 0xb2a5705f, v23
	v_sub_f32_e32 v24, v24, v27
	v_fmac_f32_e32 v28, 0xb2a5705f, v22
	v_sub_f32_e32 v25, v25, v29
	v_add_f32_e32 v24, v24, v26
	v_add_f32_e32 v25, v25, v28
	v_cvt_i32_f32_e32 v27, v27
	v_cvt_i32_f32_e32 v29, v29
	v_exp_f32_e32 v24, v24
	v_exp_f32_e32 v25, v25
	v_cmp_nlt_f32_e32 vcc, s18, v22
	v_cmp_nlt_f32_e64 s[0:1], s18, v23
	v_ldexp_f32 v24, v24, v27
	v_ldexp_f32 v25, v25, v29
	v_cndmask_b32_e64 v24, 0, v24, s[0:1]
	v_cndmask_b32_e32 v26, 0, v25, vcc
	v_cmp_ngt_f32_e32 vcc, s19, v22
	v_cmp_ngt_f32_e64 s[0:1], s19, v23
	s_nop 1
	v_cndmask_b32_e64 v25, v9, v24, s[0:1]
	v_cndmask_b32_e32 v24, v9, v26, vcc
	v_pk_add_f32 v[24:25], v[24:25], 1.0 op_sel_hi:[1,0]
	s_nop 0
	v_div_scale_f32 v26, s[0:1], v25, v25, v23
	v_div_scale_f32 v28, s[0:1], v24, v24, v22
	v_rcp_f32_e32 v30, v26
	v_rcp_f32_e32 v31, v28
	v_div_scale_f32 v27, vcc, v23, v25, v23
	v_fma_f32 v32, -v26, v30, 1.0
	v_fma_f32 v33, -v28, v31, 1.0
	v_fmac_f32_e32 v30, v32, v30
	v_div_scale_f32 v29, s[0:1], v22, v24, v22
	v_fmac_f32_e32 v31, v33, v31
	v_mul_f32_e32 v32, v27, v30
	v_mul_f32_e32 v33, v29, v31
	v_fma_f32 v34, -v26, v32, v27
	v_fma_f32 v35, -v28, v33, v29
	v_fmac_f32_e32 v32, v34, v30
	v_fmac_f32_e32 v33, v35, v31
	v_fma_f32 v26, -v26, v32, v27
	v_fma_f32 v27, -v28, v33, v29
	v_div_fmas_f32 v26, v26, v30, v32
	s_mov_b64 vcc, s[0:1]
	v_div_fixup_f32 v23, v26, v25, v23
	v_div_fmas_f32 v25, v27, v31, v33
	v_div_fixup_f32 v22, v25, v24, v22
	global_store_dwordx2 v[0:1], v[22:23], off
	v_lshl_add_u64 v[0:1], v[0:1], 0, 8
	s_cbranch_scc1 .LBB3_43
; %bb.44:
	s_cmp_lg_u64 s[6:7], s[4:5]
	s_cselect_b64 s[0:1], -1, 0
	s_and_b64 vcc, exec, s[0:1]
	s_cbranch_vccnz .LBB3_46
	s_branch .LBB3_48
.LBB3_45:
	s_mov_b64 s[4:5], 0
	s_cbranch_execz .LBB3_48
.LBB3_46:
	s_ashr_i32 s3, s2, 31
	s_sub_u32 s0, s6, s4
	s_subb_u32 s1, s7, s5
	s_add_u32 s5, s12, s14
	s_mul_hi_i32 s7, s4, s2
	s_mul_i32 s6, s4, s2
	s_addc_u32 s10, s13, s17
	s_lshl_b64 s[6:7], s[6:7], 2
	s_add_u32 s5, s5, s6
	s_addc_u32 s7, s10, s7
	s_add_u32 s6, s8, s16
	s_addc_u32 s8, s9, s15
	;; [unrolled: 2-line block ×3, first 2 shown]
	s_lshl_b32 s4, s4, 2
	v_mov_b32_e32 v9, 0
	s_add_i32 s4, s4, 0
	v_lshl_add_u64 v[0:1], s[6:7], 0, v[8:9]
	s_lshl_b64 s[2:3], s[2:3], 2
	v_add_u32_e32 v7, s4, v20
	s_mov_b32 s4, 0xbfb8aa3b
	s_mov_b32 s5, 0x42ce8ed0
	;; [unrolled: 1-line block ×3, first 2 shown]
	v_mov_b32_e32 v8, 0x7f800000
	s_waitcnt vmcnt(0)
.LBB3_47:                               ; =>This Inner Loop Header: Depth=1
	ds_read2_b32 v[10:11], v7 offset1:1
	ds_read2_b32 v[12:13], v7 offset0:2 offset1:3
	s_add_u32 s0, s0, -1
	s_addc_u32 s1, s1, -1
	v_add_u32_e32 v7, 4, v7
	s_waitcnt lgkmcnt(1)
	v_pk_mul_f32 v[10:11], v[2:3], v[10:11]
	s_waitcnt lgkmcnt(0)
	v_pk_mul_f32 v[12:13], v[4:5], v[12:13]
	v_add_f32_e32 v9, 0, v10
	v_add_f32_e32 v9, v9, v11
	;; [unrolled: 1-line block ×5, first 2 shown]
	v_mul_f32_e32 v10, 0xbfb8aa3b, v9
	v_fma_f32 v11, v9, s4, -v10
	v_rndne_f32_e32 v12, v10
	v_fmac_f32_e32 v11, 0xb2a5705f, v9
	v_sub_f32_e32 v10, v10, v12
	v_add_f32_e32 v10, v10, v11
	v_cvt_i32_f32_e32 v12, v12
	v_exp_f32_e32 v10, v10
	v_cmp_nlt_f32_e32 vcc, s5, v9
	s_cmp_lg_u64 s[0:1], 0
	v_ldexp_f32 v10, v10, v12
	v_cndmask_b32_e32 v10, 0, v10, vcc
	v_cmp_ngt_f32_e32 vcc, s6, v9
	s_nop 1
	v_cndmask_b32_e32 v10, v8, v10, vcc
	v_add_f32_e32 v10, 1.0, v10
	v_div_scale_f32 v11, s[8:9], v10, v10, v9
	v_rcp_f32_e32 v12, v11
	v_div_scale_f32 v13, vcc, v9, v10, v9
	v_fma_f32 v14, -v11, v12, 1.0
	v_fmac_f32_e32 v12, v14, v12
	v_mul_f32_e32 v14, v13, v12
	v_fma_f32 v15, -v11, v14, v13
	v_fmac_f32_e32 v14, v15, v12
	v_fma_f32 v11, -v11, v14, v13
	v_div_fmas_f32 v11, v11, v12, v14
	v_div_fixup_f32 v9, v11, v10, v9
	global_store_dword v[0:1], v9, off
	v_lshl_add_u64 v[0:1], v[0:1], 0, s[2:3]
	s_cbranch_scc1 .LBB3_47
.LBB3_48:
	s_endpgm
	.section	.rodata,"a",@progbits
	.p2align	6, 0x0
	.amdhsa_kernel _ZL23ssm_conv_long_token_f32ILb1ELm128ELm4ELl32EEvPKfS1_S1_iiiiPfiiil
		.amdhsa_group_segment_fixed_size 0
		.amdhsa_private_segment_fixed_size 0
		.amdhsa_kernarg_size 72
		.amdhsa_user_sgpr_count 2
		.amdhsa_user_sgpr_dispatch_ptr 0
		.amdhsa_user_sgpr_queue_ptr 0
		.amdhsa_user_sgpr_kernarg_segment_ptr 1
		.amdhsa_user_sgpr_dispatch_id 0
		.amdhsa_user_sgpr_kernarg_preload_length 0
		.amdhsa_user_sgpr_kernarg_preload_offset 0
		.amdhsa_user_sgpr_private_segment_size 0
		.amdhsa_uses_dynamic_stack 0
		.amdhsa_enable_private_segment 0
		.amdhsa_system_sgpr_workgroup_id_x 1
		.amdhsa_system_sgpr_workgroup_id_y 1
		.amdhsa_system_sgpr_workgroup_id_z 1
		.amdhsa_system_sgpr_workgroup_info 0
		.amdhsa_system_vgpr_workitem_id 0
		.amdhsa_next_free_vgpr 50
		.amdhsa_next_free_sgpr 24
		.amdhsa_accum_offset 52
		.amdhsa_reserve_vcc 1
		.amdhsa_float_round_mode_32 0
		.amdhsa_float_round_mode_16_64 0
		.amdhsa_float_denorm_mode_32 3
		.amdhsa_float_denorm_mode_16_64 3
		.amdhsa_dx10_clamp 1
		.amdhsa_ieee_mode 1
		.amdhsa_fp16_overflow 0
		.amdhsa_tg_split 0
		.amdhsa_exception_fp_ieee_invalid_op 0
		.amdhsa_exception_fp_denorm_src 0
		.amdhsa_exception_fp_ieee_div_zero 0
		.amdhsa_exception_fp_ieee_overflow 0
		.amdhsa_exception_fp_ieee_underflow 0
		.amdhsa_exception_fp_ieee_inexact 0
		.amdhsa_exception_int_div_zero 0
	.end_amdhsa_kernel
	.section	.text._ZL23ssm_conv_long_token_f32ILb1ELm128ELm4ELl32EEvPKfS1_S1_iiiiPfiiil,"axG",@progbits,_ZL23ssm_conv_long_token_f32ILb1ELm128ELm4ELl32EEvPKfS1_S1_iiiiPfiiil,comdat
.Lfunc_end3:
	.size	_ZL23ssm_conv_long_token_f32ILb1ELm128ELm4ELl32EEvPKfS1_S1_iiiiPfiiil, .Lfunc_end3-_ZL23ssm_conv_long_token_f32ILb1ELm128ELm4ELl32EEvPKfS1_S1_iiiiPfiiil
                                        ; -- End function
	.set _ZL23ssm_conv_long_token_f32ILb1ELm128ELm4ELl32EEvPKfS1_S1_iiiiPfiiil.num_vgpr, 50
	.set _ZL23ssm_conv_long_token_f32ILb1ELm128ELm4ELl32EEvPKfS1_S1_iiiiPfiiil.num_agpr, 0
	.set _ZL23ssm_conv_long_token_f32ILb1ELm128ELm4ELl32EEvPKfS1_S1_iiiiPfiiil.numbered_sgpr, 24
	.set _ZL23ssm_conv_long_token_f32ILb1ELm128ELm4ELl32EEvPKfS1_S1_iiiiPfiiil.num_named_barrier, 0
	.set _ZL23ssm_conv_long_token_f32ILb1ELm128ELm4ELl32EEvPKfS1_S1_iiiiPfiiil.private_seg_size, 0
	.set _ZL23ssm_conv_long_token_f32ILb1ELm128ELm4ELl32EEvPKfS1_S1_iiiiPfiiil.uses_vcc, 1
	.set _ZL23ssm_conv_long_token_f32ILb1ELm128ELm4ELl32EEvPKfS1_S1_iiiiPfiiil.uses_flat_scratch, 0
	.set _ZL23ssm_conv_long_token_f32ILb1ELm128ELm4ELl32EEvPKfS1_S1_iiiiPfiiil.has_dyn_sized_stack, 0
	.set _ZL23ssm_conv_long_token_f32ILb1ELm128ELm4ELl32EEvPKfS1_S1_iiiiPfiiil.has_recursion, 0
	.set _ZL23ssm_conv_long_token_f32ILb1ELm128ELm4ELl32EEvPKfS1_S1_iiiiPfiiil.has_indirect_call, 0
	.section	.AMDGPU.csdata,"",@progbits
; Kernel info:
; codeLenInByte = 5336
; TotalNumSgprs: 30
; NumVgprs: 50
; NumAgprs: 0
; TotalNumVgprs: 50
; ScratchSize: 0
; MemoryBound: 0
; FloatMode: 240
; IeeeMode: 1
; LDSByteSize: 0 bytes/workgroup (compile time only)
; SGPRBlocks: 3
; VGPRBlocks: 6
; NumSGPRsForWavesPerEU: 30
; NumVGPRsForWavesPerEU: 50
; AccumOffset: 52
; Occupancy: 8
; WaveLimiterHint : 0
; COMPUTE_PGM_RSRC2:SCRATCH_EN: 0
; COMPUTE_PGM_RSRC2:USER_SGPR: 2
; COMPUTE_PGM_RSRC2:TRAP_HANDLER: 0
; COMPUTE_PGM_RSRC2:TGID_X_EN: 1
; COMPUTE_PGM_RSRC2:TGID_Y_EN: 1
; COMPUTE_PGM_RSRC2:TGID_Z_EN: 1
; COMPUTE_PGM_RSRC2:TIDIG_COMP_CNT: 0
; COMPUTE_PGM_RSRC3_GFX90A:ACCUM_OFFSET: 12
; COMPUTE_PGM_RSRC3_GFX90A:TG_SPLIT: 0
	.section	.text._ZL12ssm_conv_f32ILb1ELm128ELm5EEvPKfS1_S1_iiiiPfiiil,"axG",@progbits,_ZL12ssm_conv_f32ILb1ELm128ELm5EEvPKfS1_S1_iiiiPfiiil,comdat
	.globl	_ZL12ssm_conv_f32ILb1ELm128ELm5EEvPKfS1_S1_iiiiPfiiil ; -- Begin function _ZL12ssm_conv_f32ILb1ELm128ELm5EEvPKfS1_S1_iiiiPfiiil
	.p2align	8
	.type	_ZL12ssm_conv_f32ILb1ELm128ELm5EEvPKfS1_S1_iiiiPfiiil,@function
_ZL12ssm_conv_f32ILb1ELm128ELm5EEvPKfS1_S1_iiiiPfiiil: ; @_ZL12ssm_conv_f32ILb1ELm128ELm5EEvPKfS1_S1_iiiiPfiiil
; %bb.0:
	s_load_dwordx4 s[12:15], s[0:1], 0x1c
	s_load_dwordx4 s[4:7], s[0:1], 0x0
	s_load_dwordx2 s[10:11], s[0:1], 0x10
	s_mov_b32 s8, s3
	s_ashr_i32 s9, s3, 31
	s_lshl_b64 s[16:17], s[8:9], 7
	s_waitcnt lgkmcnt(0)
	s_ashr_i32 s3, s14, 31
	s_mul_i32 s3, s16, s3
	s_mul_hi_u32 s15, s16, s14
	s_lshr_b64 s[8:9], s[8:9], 25
	s_add_i32 s3, s15, s3
	s_mul_i32 s8, s8, s14
	s_add_i32 s3, s3, s8
	s_mul_i32 s8, s16, s14
	s_add_u32 s8, s6, s8
	s_addc_u32 s9, s7, s3
	s_cmp_eq_u64 s[10:11], 0
	v_lshlrev_b32_e32 v14, 2, v0
	s_cbranch_scc1 .LBB4_2
; %bb.1:
	s_lshl_b64 s[6:7], s[16:17], 2
	s_add_u32 s6, s10, s6
	s_addc_u32 s7, s11, s7
	global_load_dword v18, v14, s[6:7]
	s_load_dwordx2 s[6:7], s[0:1], 0x40
	s_waitcnt lgkmcnt(0)
	v_cmp_lt_i64_e64 s[10:11], s[6:7], 1
	s_and_b64 vcc, exec, s[10:11]
	s_cbranch_vccz .LBB4_3
	s_branch .LBB4_6
.LBB4_2:
	v_mov_b32_e32 v18, 0
	s_load_dwordx2 s[6:7], s[0:1], 0x40
	s_waitcnt lgkmcnt(0)
	v_cmp_lt_i64_e64 s[10:11], s[6:7], 1
	s_and_b64 vcc, exec, s[10:11]
	s_cbranch_vccnz .LBB4_6
.LBB4_3:
	s_ashr_i32 s3, s14, 2
	v_mul_lo_u32 v2, s3, v0
	v_ashrrev_i32_e32 v3, 31, v2
	v_lshl_add_u64 v[10:11], v[2:3], 2, s[8:9]
	global_load_dwordx4 v[2:5], v[10:11], off
	s_load_dwordx2 s[14:15], s[0:1], 0x28
	s_load_dwordx4 s[8:11], s[0:1], 0x30
	s_ashr_i32 s0, s12, 31
	s_mul_hi_u32 s1, s16, s12
	s_mul_i32 s0, s16, s0
	s_mul_i32 s3, s13, s2
	s_add_i32 s0, s1, s0
	s_mul_i32 s1, s17, s12
	s_waitcnt lgkmcnt(0)
	s_mul_i32 s2, s10, s2
	s_ashr_i32 s11, s3, 31
	s_add_i32 s18, s0, s1
	s_ashr_i32 s13, s2, 31
	s_add_u32 s0, s14, s2
	s_addc_u32 s1, s15, s13
	s_ashr_i32 s10, s8, 31
	s_mul_hi_u32 s20, s16, s8
	s_mul_i32 s10, s16, s10
	s_add_i32 s10, s20, s10
	s_mul_i32 s17, s17, s8
	s_mul_i32 s19, s16, s12
	s_add_i32 s17, s10, s17
	s_mul_i32 s16, s16, s8
	s_add_u32 s0, s0, s16
	s_addc_u32 s1, s1, s17
	s_add_u32 s8, s4, s3
	s_addc_u32 s10, s5, s11
	;; [unrolled: 2-line block ×3, first 2 shown]
	s_ashr_i32 s8, s12, 2
	v_mul_lo_u32 v12, s8, v0
	v_ashrrev_i32_e32 v13, 31, v12
	v_lshl_add_u64 v[20:21], v[12:13], 2, s[20:21]
	global_load_dwordx4 v[6:9], v[20:21], off
	global_load_dword v17, v[20:21], off offset:16
	global_load_dword v1, v[10:11], off offset:16
	s_mov_b32 s24, 0xbfb8aa3b
	s_mov_b32 s25, 0x42ce8ed0
	;; [unrolled: 1-line block ×3, first 2 shown]
	s_cmp_eq_u64 s[6:7], 1
	s_waitcnt vmcnt(3)
	v_mov_b32_e32 v10, v3
	v_mov_b32_e32 v11, v4
	;; [unrolled: 1-line block ×3, first 2 shown]
	s_waitcnt vmcnt(2)
	v_pk_mov_b32 v[4:5], v[6:7], v[8:9] op_sel:[1,0]
	v_fma_f32 v3, v2, v6, 0
	v_pk_mul_f32 v[4:5], v[10:11], v[4:5]
	v_mov_b32_e32 v16, v9
	v_add_f32_e32 v3, v3, v4
	s_waitcnt vmcnt(0)
	v_pk_mul_f32 v[20:21], v[0:1], v[16:17]
	v_add_f32_e32 v3, v3, v5
	v_add_f32_e32 v3, v3, v20
	;; [unrolled: 1-line block ×4, first 2 shown]
	v_mul_f32_e32 v3, 0xbfb8aa3b, v4
	v_fma_f32 v5, v4, s24, -v3
	v_rndne_f32_e32 v15, v3
	v_fmac_f32_e32 v5, 0xb2a5705f, v4
	v_sub_f32_e32 v3, v3, v15
	v_add_f32_e32 v3, v3, v5
	v_cvt_i32_f32_e32 v15, v15
	v_exp_f32_e32 v5, v3
	v_cmp_nlt_f32_e32 vcc, s25, v4
	v_mov_b32_e32 v3, 0x7f800000
	v_ldexp_f32 v5, v5, v15
	v_cndmask_b32_e32 v5, 0, v5, vcc
	v_cmp_ngt_f32_e32 vcc, s26, v4
	v_mov_b32_e32 v15, 0
	s_nop 0
	v_cndmask_b32_e32 v5, v3, v5, vcc
	v_add_f32_e32 v5, 1.0, v5
	v_div_scale_f32 v16, s[20:21], v5, v5, v4
	v_rcp_f32_e32 v19, v16
	v_div_scale_f32 v20, vcc, v4, v5, v4
	v_fma_f32 v21, -v16, v19, 1.0
	v_fmac_f32_e32 v19, v21, v19
	v_mul_f32_e32 v21, v20, v19
	v_fma_f32 v22, -v16, v21, v20
	v_fmac_f32_e32 v21, v22, v19
	v_fma_f32 v16, -v16, v21, v20
	v_div_fmas_f32 v16, v16, v19, v21
	v_div_fixup_f32 v4, v16, v5, v4
	global_store_dword v14, v4, s[0:1]
	s_cbranch_scc1 .LBB4_6
; %bb.4:
	s_ashr_i32 s0, s9, 2
	s_ashr_i32 s1, s0, 31
	s_add_u32 s8, s6, -1
	s_addc_u32 s9, s7, -1
	s_add_u32 s3, s4, s3
	s_addc_u32 s5, s5, s11
	s_add_u32 s4, s3, s19
	s_addc_u32 s5, s5, s18
	s_lshl_b64 s[10:11], s[0:1], 2
	s_add_u32 s0, s16, s10
	s_addc_u32 s1, s17, s11
	s_add_u32 s2, s14, s2
	s_addc_u32 s3, s15, s13
	s_add_u32 s0, s2, s0
	v_lshl_add_u64 v[12:13], v[12:13], 2, s[4:5]
	s_addc_u32 s1, s3, s1
	v_mov_b32_e32 v4, v17
	v_lshl_add_u64 v[12:13], v[12:13], 0, 20
	v_lshl_add_u64 v[14:15], s[0:1], 0, v[14:15]
	s_mov_b64 s[12:13], 1
	s_mov_b64 s[14:15], 5
	;; [unrolled: 1-line block ×6, first 2 shown]
.LBB4_5:                                ; =>This Inner Loop Header: Depth=1
	global_load_dword v5, v[12:13], off
	s_mul_i32 s3, s13, 0xcccccccd
	s_mul_hi_u32 s4, s12, 0xcccccccd
	s_mul_hi_u32 s2, s13, 0xcccccccd
	s_add_u32 s3, s3, s4
	s_mul_i32 s1, s12, 0xcccccccc
	s_addc_u32 s2, s2, 0
	s_mul_hi_u32 s0, s12, 0xcccccccc
	s_add_u32 s1, s1, s3
	s_addc_u32 s0, s0, 0
	s_add_u32 s0, s2, s0
	s_mul_i32 s6, s13, 0xcccccccc
	s_addc_u32 s1, 0, 0
	s_mul_hi_u32 s5, s13, 0xcccccccc
	s_add_u32 s0, s6, s0
	s_addc_u32 s1, s5, s1
	s_lshr_b64 s[0:1], s[0:1], 2
	s_mul_i32 s0, s0, 5
	s_mul_i32 s29, s15, 0xcccccccd
	s_mul_hi_u32 s30, s14, 0xcccccccd
	s_sub_i32 s62, s12, s0
	s_mul_hi_u32 s28, s15, 0xcccccccd
	s_add_u32 s0, s29, s30
	s_mul_i32 s27, s14, 0xcccccccc
	s_addc_u32 s1, s28, 0
	s_mul_hi_u32 s7, s14, 0xcccccccc
	s_add_u32 s0, s27, s0
	s_addc_u32 s0, s7, 0
	s_add_u32 s0, s1, s0
	s_mul_i32 s33, s15, 0xcccccccc
	s_addc_u32 s1, 0, 0
	s_mul_hi_u32 s31, s15, 0xcccccccc
	s_add_u32 s0, s33, s0
	s_addc_u32 s1, s31, s1
	s_lshr_b64 s[0:1], s[0:1], 2
	s_mul_i32 s0, s0, 5
	s_mul_i32 s37, s17, 0xcccccccd
	s_mul_hi_u32 s38, s16, 0xcccccccd
	s_sub_i32 s27, s14, s0
	;; [unrolled: 18-line block ×5, first 2 shown]
	s_mul_hi_u32 s57, s23, 0xcccccccd
	s_add_u32 s0, s58, s59
	s_mul_i32 s56, s22, 0xcccccccc
	s_addc_u32 s1, s57, 0
	s_mul_hi_u32 s55, s22, 0xcccccccc
	s_add_u32 s0, s56, s0
	s_addc_u32 s0, s55, 0
	s_add_u32 s0, s1, s0
	s_mul_i32 s61, s23, 0xcccccccc
	s_addc_u32 s1, 0, 0
	s_mul_hi_u32 s60, s23, 0xcccccccc
	s_add_u32 s0, s61, s0
	s_addc_u32 s1, s60, s1
	s_lshr_b64 s[0:1], s[0:1], 2
	s_mul_i32 s0, s0, 5
	s_sub_i32 s6, s22, s0
	s_cmp_eq_u32 s6, 4
	s_cselect_b64 vcc, -1, 0
	s_cmp_eq_u32 s6, 3
	s_cselect_b64 s[0:1], -1, 0
	s_cmp_eq_u32 s6, 2
	s_cselect_b64 s[2:3], -1, 0
	;; [unrolled: 2-line block ×4, first 2 shown]
	s_cmp_eq_u32 s62, 1
	s_waitcnt vmcnt(0)
	v_cndmask_b32_e32 v4, v4, v5, vcc
	v_cndmask_b32_e64 v7, v7, v5, s[4:5]
	v_cndmask_b32_e64 v6, v6, v5, s[6:7]
	s_cselect_b64 vcc, -1, 0
	s_cmp_eq_u32 s62, 2
	v_cndmask_b32_e64 v9, v9, v5, s[0:1]
	v_cndmask_b32_e64 v8, v8, v5, s[2:3]
	v_cndmask_b32_e32 v5, v6, v7, vcc
	s_cselect_b64 vcc, -1, 0
	s_cmp_eq_u32 s62, 3
	v_cndmask_b32_e32 v5, v5, v8, vcc
	s_cselect_b64 vcc, -1, 0
	s_cmp_eq_u32 s62, 4
	v_cndmask_b32_e32 v5, v5, v9, vcc
	s_cselect_b64 vcc, -1, 0
	s_add_u32 s12, s12, 1
	s_addc_u32 s13, s13, 0
	s_cmp_eq_u32 s30, 1
	v_cndmask_b32_e32 v5, v5, v4, vcc
	s_cselect_b64 vcc, -1, 0
	s_cmp_eq_u32 s30, 2
	v_cndmask_b32_e32 v16, v6, v7, vcc
	s_cselect_b64 vcc, -1, 0
	;; [unrolled: 3-line block ×9, first 2 shown]
	s_cmp_eq_u32 s28, 2
	v_fma_f32 v5, v2, v5, 0
	v_pk_mul_f32 v[16:17], v[10:11], v[16:17]
	v_cndmask_b32_e32 v19, v6, v7, vcc
	s_cselect_b64 vcc, -1, 0
	s_cmp_eq_u32 s28, 3
	v_add_f32_e32 v5, v5, v16
	v_cndmask_b32_e32 v16, v19, v8, vcc
	s_cselect_b64 vcc, -1, 0
	s_cmp_eq_u32 s28, 4
	v_cndmask_b32_e32 v16, v16, v9, vcc
	s_cselect_b64 vcc, -1, 0
	s_cmp_eq_u32 s27, 1
	;; [unrolled: 3-line block ×3, first 2 shown]
	v_add_f32_e32 v5, v5, v17
	v_cndmask_b32_e32 v17, v6, v7, vcc
	s_cselect_b64 vcc, -1, 0
	s_cmp_eq_u32 s27, 3
	v_cndmask_b32_e32 v17, v17, v8, vcc
	s_cselect_b64 vcc, -1, 0
	s_cmp_eq_u32 s27, 4
	v_cndmask_b32_e32 v17, v17, v9, vcc
	s_cselect_b64 vcc, -1, 0
	v_cndmask_b32_e32 v17, v17, v4, vcc
	v_pk_mul_f32 v[16:17], v[0:1], v[16:17]
	s_add_u32 s14, s14, 1
	v_add_f32_e32 v5, v5, v16
	v_add_f32_e32 v5, v5, v17
	;; [unrolled: 1-line block ×3, first 2 shown]
	v_mul_f32_e32 v16, 0xbfb8aa3b, v5
	v_fma_f32 v17, v5, s24, -v16
	v_rndne_f32_e32 v19, v16
	v_fmac_f32_e32 v17, 0xb2a5705f, v5
	v_sub_f32_e32 v16, v16, v19
	v_add_f32_e32 v16, v16, v17
	v_cvt_i32_f32_e32 v19, v19
	v_exp_f32_e32 v16, v16
	v_cmp_nlt_f32_e32 vcc, s25, v5
	s_addc_u32 s15, s15, 0
	s_add_u32 s16, s16, 1
	v_ldexp_f32 v16, v16, v19
	v_cndmask_b32_e32 v16, 0, v16, vcc
	v_cmp_ngt_f32_e32 vcc, s26, v5
	s_addc_u32 s17, s17, 0
	s_add_u32 s18, s18, 1
	v_cndmask_b32_e32 v16, v3, v16, vcc
	v_add_f32_e32 v16, 1.0, v16
	v_div_scale_f32 v17, s[0:1], v16, v16, v5
	v_rcp_f32_e32 v19, v17
	s_addc_u32 s19, s19, 0
	v_div_scale_f32 v20, vcc, v5, v16, v5
	v_fma_f32 v21, -v17, v19, 1.0
	v_fmac_f32_e32 v19, v21, v19
	s_add_u32 s8, s8, -1
	v_mul_f32_e32 v21, v20, v19
	s_addc_u32 s9, s9, -1
	v_fma_f32 v22, -v17, v21, v20
	s_add_u32 s20, s20, 1
	v_fmac_f32_e32 v21, v22, v19
	s_addc_u32 s21, s21, 0
	v_fma_f32 v17, -v17, v21, v20
	s_add_u32 s22, s22, 1
	v_div_fmas_f32 v17, v17, v19, v21
	s_addc_u32 s23, s23, 0
	v_div_fixup_f32 v5, v17, v16, v5
	v_lshl_add_u64 v[12:13], v[12:13], 0, 4
	s_cmp_eq_u64 s[8:9], 0
	global_store_dword v[14:15], v5, off
	v_lshl_add_u64 v[14:15], v[14:15], 0, s[10:11]
	s_cbranch_scc0 .LBB4_5
.LBB4_6:
	s_endpgm
	.section	.rodata,"a",@progbits
	.p2align	6, 0x0
	.amdhsa_kernel _ZL12ssm_conv_f32ILb1ELm128ELm5EEvPKfS1_S1_iiiiPfiiil
		.amdhsa_group_segment_fixed_size 0
		.amdhsa_private_segment_fixed_size 0
		.amdhsa_kernarg_size 72
		.amdhsa_user_sgpr_count 2
		.amdhsa_user_sgpr_dispatch_ptr 0
		.amdhsa_user_sgpr_queue_ptr 0
		.amdhsa_user_sgpr_kernarg_segment_ptr 1
		.amdhsa_user_sgpr_dispatch_id 0
		.amdhsa_user_sgpr_kernarg_preload_length 0
		.amdhsa_user_sgpr_kernarg_preload_offset 0
		.amdhsa_user_sgpr_private_segment_size 0
		.amdhsa_uses_dynamic_stack 0
		.amdhsa_enable_private_segment 0
		.amdhsa_system_sgpr_workgroup_id_x 1
		.amdhsa_system_sgpr_workgroup_id_y 1
		.amdhsa_system_sgpr_workgroup_id_z 0
		.amdhsa_system_sgpr_workgroup_info 0
		.amdhsa_system_vgpr_workitem_id 0
		.amdhsa_next_free_vgpr 23
		.amdhsa_next_free_sgpr 63
		.amdhsa_accum_offset 24
		.amdhsa_reserve_vcc 1
		.amdhsa_float_round_mode_32 0
		.amdhsa_float_round_mode_16_64 0
		.amdhsa_float_denorm_mode_32 3
		.amdhsa_float_denorm_mode_16_64 3
		.amdhsa_dx10_clamp 1
		.amdhsa_ieee_mode 1
		.amdhsa_fp16_overflow 0
		.amdhsa_tg_split 0
		.amdhsa_exception_fp_ieee_invalid_op 0
		.amdhsa_exception_fp_denorm_src 0
		.amdhsa_exception_fp_ieee_div_zero 0
		.amdhsa_exception_fp_ieee_overflow 0
		.amdhsa_exception_fp_ieee_underflow 0
		.amdhsa_exception_fp_ieee_inexact 0
		.amdhsa_exception_int_div_zero 0
	.end_amdhsa_kernel
	.section	.text._ZL12ssm_conv_f32ILb1ELm128ELm5EEvPKfS1_S1_iiiiPfiiil,"axG",@progbits,_ZL12ssm_conv_f32ILb1ELm128ELm5EEvPKfS1_S1_iiiiPfiiil,comdat
.Lfunc_end4:
	.size	_ZL12ssm_conv_f32ILb1ELm128ELm5EEvPKfS1_S1_iiiiPfiiil, .Lfunc_end4-_ZL12ssm_conv_f32ILb1ELm128ELm5EEvPKfS1_S1_iiiiPfiiil
                                        ; -- End function
	.set _ZL12ssm_conv_f32ILb1ELm128ELm5EEvPKfS1_S1_iiiiPfiiil.num_vgpr, 23
	.set _ZL12ssm_conv_f32ILb1ELm128ELm5EEvPKfS1_S1_iiiiPfiiil.num_agpr, 0
	.set _ZL12ssm_conv_f32ILb1ELm128ELm5EEvPKfS1_S1_iiiiPfiiil.numbered_sgpr, 63
	.set _ZL12ssm_conv_f32ILb1ELm128ELm5EEvPKfS1_S1_iiiiPfiiil.num_named_barrier, 0
	.set _ZL12ssm_conv_f32ILb1ELm128ELm5EEvPKfS1_S1_iiiiPfiiil.private_seg_size, 0
	.set _ZL12ssm_conv_f32ILb1ELm128ELm5EEvPKfS1_S1_iiiiPfiiil.uses_vcc, 1
	.set _ZL12ssm_conv_f32ILb1ELm128ELm5EEvPKfS1_S1_iiiiPfiiil.uses_flat_scratch, 0
	.set _ZL12ssm_conv_f32ILb1ELm128ELm5EEvPKfS1_S1_iiiiPfiiil.has_dyn_sized_stack, 0
	.set _ZL12ssm_conv_f32ILb1ELm128ELm5EEvPKfS1_S1_iiiiPfiiil.has_recursion, 0
	.set _ZL12ssm_conv_f32ILb1ELm128ELm5EEvPKfS1_S1_iiiiPfiiil.has_indirect_call, 0
	.section	.AMDGPU.csdata,"",@progbits
; Kernel info:
; codeLenInByte = 1980
; TotalNumSgprs: 69
; NumVgprs: 23
; NumAgprs: 0
; TotalNumVgprs: 23
; ScratchSize: 0
; MemoryBound: 0
; FloatMode: 240
; IeeeMode: 1
; LDSByteSize: 0 bytes/workgroup (compile time only)
; SGPRBlocks: 8
; VGPRBlocks: 2
; NumSGPRsForWavesPerEU: 69
; NumVGPRsForWavesPerEU: 23
; AccumOffset: 24
; Occupancy: 8
; WaveLimiterHint : 0
; COMPUTE_PGM_RSRC2:SCRATCH_EN: 0
; COMPUTE_PGM_RSRC2:USER_SGPR: 2
; COMPUTE_PGM_RSRC2:TRAP_HANDLER: 0
; COMPUTE_PGM_RSRC2:TGID_X_EN: 1
; COMPUTE_PGM_RSRC2:TGID_Y_EN: 1
; COMPUTE_PGM_RSRC2:TGID_Z_EN: 0
; COMPUTE_PGM_RSRC2:TIDIG_COMP_CNT: 0
; COMPUTE_PGM_RSRC3_GFX90A:ACCUM_OFFSET: 5
; COMPUTE_PGM_RSRC3_GFX90A:TG_SPLIT: 0
	.section	.text._ZL23ssm_conv_long_token_f32ILb1ELm128ELm5ELl32EEvPKfS1_S1_iiiiPfiiil,"axG",@progbits,_ZL23ssm_conv_long_token_f32ILb1ELm128ELm5ELl32EEvPKfS1_S1_iiiiPfiiil,comdat
	.globl	_ZL23ssm_conv_long_token_f32ILb1ELm128ELm5ELl32EEvPKfS1_S1_iiiiPfiiil ; -- Begin function _ZL23ssm_conv_long_token_f32ILb1ELm128ELm5ELl32EEvPKfS1_S1_iiiiPfiiil
	.p2align	8
	.type	_ZL23ssm_conv_long_token_f32ILb1ELm128ELm5ELl32EEvPKfS1_S1_iiiiPfiiil,@function
_ZL23ssm_conv_long_token_f32ILb1ELm128ELm5ELl32EEvPKfS1_S1_iiiiPfiiil: ; @_ZL23ssm_conv_long_token_f32ILb1ELm128ELm5ELl32EEvPKfS1_S1_iiiiPfiiil
; %bb.0:
	s_load_dwordx4 s[8:11], s[0:1], 0x18
	s_load_dwordx2 s[12:13], s[0:1], 0x0
	s_mov_b32 s6, s3
	v_mul_u32_u24_e32 v1, 0x71d, v0
	v_lshrrev_b32_e32 v1, 16, v1
	s_waitcnt lgkmcnt(0)
	s_mul_i32 s3, s10, s2
	s_ashr_i32 s5, s3, 31
	s_add_u32 s3, s12, s3
	s_addc_u32 s5, s13, s5
	s_ashr_i32 s7, s6, 31
	s_lshl_b64 s[12:13], s[6:7], 7
	s_ashr_i32 s10, s9, 31
	s_mul_i32 s10, s12, s10
	s_mul_hi_u32 s14, s12, s9
	s_lshr_b64 s[6:7], s[6:7], 25
	s_add_i32 s10, s14, s10
	s_mul_i32 s6, s6, s9
	s_add_i32 s10, s10, s6
	s_mul_i32 s6, s12, s9
	s_add_u32 s3, s3, s6
	s_addc_u32 s6, s5, s10
	s_ashr_i32 s5, s4, 31
	s_lshl_b64 s[14:15], s[4:5], 5
	s_ashr_i32 s7, s8, 31
	s_mul_i32 s7, s14, s7
	s_mul_hi_u32 s10, s14, s8
	s_lshr_b64 s[4:5], s[4:5], 27
	s_add_i32 s7, s10, s7
	s_mul_i32 s4, s4, s8
	s_add_i32 s7, s7, s4
	s_mul_i32 s4, s14, s8
	s_add_u32 s16, s3, s4
	v_mul_lo_u16_e32 v2, 36, v1
	s_addc_u32 s17, s6, s7
	s_ashr_i32 s3, s9, 2
	v_sub_u16_e32 v2, v0, v2
	v_mad_u64_u32 v[4:5], s[4:5], s3, v1, v[2:3]
	v_ashrrev_i32_e32 v5, 31, v4
	v_lshl_add_u64 v[4:5], v[4:5], 2, s[16:17]
	global_load_dword v13, v[4:5], off
	v_or_b32_e32 v3, 0x80, v2
	v_mul_lo_u16_e32 v4, 57, v3
	v_lshrrev_b16_e32 v4, 11, v4
	v_add_u32_e32 v22, v1, v4
	v_mul_lo_u16_e32 v4, 36, v4
	v_sub_u16_e32 v3, v3, v4
	v_and_b32_e32 v8, 0xff, v3
	v_or_b32_e32 v3, 0x80, v8
	v_mul_lo_u16_e32 v6, 57, v3
	v_lshrrev_b16_e32 v6, 11, v6
	v_add_u32_e32 v23, v22, v6
	v_mul_lo_u16_e32 v6, 36, v6
	v_sub_u16_e32 v3, v3, v6
	v_and_b32_e32 v10, 0xff, v3
	v_or_b32_e32 v3, 0x80, v10
	v_mad_u64_u32 v[4:5], s[4:5], v22, s3, v[8:9]
	v_mul_lo_u16_e32 v9, 57, v3
	v_lshrrev_b16_e32 v9, 11, v9
	v_add_u32_e32 v24, v23, v9
	v_mul_lo_u16_e32 v9, 36, v9
	v_sub_u16_e32 v3, v3, v9
	v_and_b32_e32 v12, 0xff, v3
	v_ashrrev_i32_e32 v5, 31, v4
	v_mad_u64_u32 v[6:7], s[4:5], v23, s3, v[10:11]
	v_lshl_add_u64 v[4:5], v[4:5], 2, s[16:17]
	v_ashrrev_i32_e32 v7, 31, v6
	v_or_b32_e32 v3, 0x80, v12
	v_lshl_add_u64 v[6:7], v[6:7], 2, s[16:17]
	v_mul_u32_u24_e32 v1, 0x90, v1
	v_lshlrev_b32_e32 v2, 2, v2
	v_add3_u32 v29, 0, v1, v2
	v_lshlrev_b32_e32 v8, 2, v8
	v_lshlrev_b32_e32 v10, 2, v10
	s_movk_i32 s7, 0x90
	s_movk_i32 s6, 0x80
	s_waitcnt vmcnt(0)
	v_mad_u64_u32 v[14:15], s[4:5], v24, s3, v[12:13]
	v_ashrrev_i32_e32 v15, 31, v14
	v_lshl_add_u64 v[14:15], v[14:15], 2, s[16:17]
	global_load_dword v25, v[4:5], off
	global_load_dword v26, v[6:7], off
	;; [unrolled: 1-line block ×3, first 2 shown]
	v_mul_lo_u16_e32 v4, 57, v3
	v_lshrrev_b16_e32 v4, 11, v4
	v_add_u32_e32 v15, v24, v4
	v_mul_lo_u16_e32 v4, 36, v4
	v_sub_u16_e32 v3, v3, v4
	v_and_b32_e32 v14, 0xff, v3
	v_or_b32_e32 v2, 0x80, v14
	v_mul_lo_u16_e32 v1, 57, v2
	v_lshrrev_b16_e32 v3, 11, v1
	v_mad_u64_u32 v[4:5], s[4:5], v15, s3, v[14:15]
	v_add_u32_e32 v1, v15, v3
	v_mul_lo_u16_e32 v3, 36, v3
	v_ashrrev_i32_e32 v5, 31, v4
	v_sub_u16_e32 v2, v2, v3
	v_lshl_add_u64 v[4:5], v[4:5], 2, s[16:17]
	v_and_b32_e32 v2, 0xff, v2
	global_load_dword v28, v[4:5], off
	v_mad_u64_u32 v[4:5], s[4:5], v1, s3, v[2:3]
	v_ashrrev_i32_e32 v5, 31, v4
	v_lshl_add_u64 v[16:17], v[4:5], 2, s[16:17]
	v_or_b32_e32 v4, 0x80, v2
	v_mul_lo_u16_e32 v3, 57, v4
	v_lshrrev_b16_e32 v5, 11, v3
	v_add_u32_e32 v3, v1, v5
	v_mul_lo_u16_e32 v5, 36, v5
	v_sub_u16_e32 v4, v4, v5
	v_and_b32_e32 v4, 0xff, v4
	v_mad_u64_u32 v[6:7], s[4:5], v3, s3, v[4:5]
	v_ashrrev_i32_e32 v7, 31, v6
	v_lshl_add_u64 v[18:19], v[6:7], 2, s[16:17]
	v_or_b32_e32 v6, 0x80, v4
	v_mul_lo_u16_e32 v5, 57, v6
	v_lshrrev_b16_e32 v7, 11, v5
	v_add_u32_e32 v5, v3, v7
	v_mul_lo_u16_e32 v7, 36, v7
	v_sub_u16_e32 v6, v6, v7
	v_and_b32_e32 v6, 0xff, v6
	v_mad_u64_u32 v[20:21], s[4:5], v5, s3, v[6:7]
	v_ashrrev_i32_e32 v21, 31, v20
	v_lshl_add_u64 v[20:21], v[20:21], 2, s[16:17]
	global_load_dword v11, v[16:17], off
	global_load_dword v9, v[18:19], off
	;; [unrolled: 1-line block ×3, first 2 shown]
	ds_write_b32 v29, v13
	v_mul_u32_u24_e32 v13, 0x90, v22
	v_add3_u32 v8, 0, v13, v8
	v_lshlrev_b32_e32 v2, 2, v2
	v_mul_u32_u24_e32 v1, 0x90, v1
	v_add3_u32 v1, 0, v1, v2
	v_lshlrev_b32_e32 v2, 2, v4
	s_waitcnt vmcnt(6)
	ds_write_b32 v8, v25
	v_mul_u32_u24_e32 v8, 0x90, v23
	v_add3_u32 v8, 0, v8, v10
	s_waitcnt vmcnt(5)
	ds_write_b32 v8, v26
	v_mul_u32_u24_e32 v8, 0x90, v24
	v_lshlrev_b32_e32 v10, 2, v12
	v_add3_u32 v8, 0, v8, v10
	s_waitcnt vmcnt(4)
	ds_write_b32 v8, v27
	v_mul_u32_u24_e32 v8, 0x90, v15
	v_lshlrev_b32_e32 v10, 2, v14
	v_add3_u32 v8, 0, v8, v10
	s_waitcnt vmcnt(3)
	ds_write_b32 v8, v28
	v_or_b32_e32 v8, 0x80, v6
	v_mul_lo_u16_e32 v10, 57, v8
	v_lshrrev_b16_e32 v10, 11, v10
	v_add_u32_e32 v40, v5, v10
	v_mul_lo_u16_e32 v10, 36, v10
	v_sub_u16_e32 v8, v8, v10
	v_and_b32_e32 v8, 0xff, v8
	v_or_b32_e32 v10, 0x80, v8
	s_waitcnt vmcnt(1)
	v_mad_u64_u32 v[12:13], s[4:5], v40, s3, v[8:9]
	v_ashrrev_i32_e32 v13, 31, v12
	v_lshl_add_u64 v[24:25], v[12:13], 2, s[16:17]
	v_mul_lo_u16_e32 v12, 57, v10
	v_lshrrev_b16_e32 v12, 11, v12
	v_add_u32_e32 v41, v40, v12
	v_mul_lo_u16_e32 v12, 36, v12
	v_sub_u16_e32 v10, v10, v12
	v_and_b32_e32 v10, 0xff, v10
	v_mad_u64_u32 v[12:13], s[4:5], v41, s3, v[10:11]
	v_ashrrev_i32_e32 v13, 31, v12
	v_lshl_add_u64 v[26:27], v[12:13], 2, s[16:17]
	v_or_b32_e32 v12, 0x80, v10
	v_mul_lo_u16_e32 v13, 57, v12
	v_lshrrev_b16_e32 v13, 11, v13
	v_add_u32_e32 v42, v41, v13
	v_mul_lo_u16_e32 v13, 36, v13
	v_sub_u16_e32 v12, v12, v13
	v_and_b32_e32 v12, 0xff, v12
	v_mad_u64_u32 v[14:15], s[4:5], v42, s3, v[12:13]
	v_ashrrev_i32_e32 v15, 31, v14
	v_or_b32_e32 v13, 0x80, v12
	v_lshl_add_u64 v[28:29], v[14:15], 2, s[16:17]
	v_mul_lo_u16_e32 v14, 57, v13
	v_lshrrev_b16_e32 v14, 11, v14
	v_add_u32_e32 v15, v42, v14
	v_mul_lo_u16_e32 v14, 36, v14
	v_sub_u16_e32 v13, v13, v14
	v_and_b32_e32 v14, 0xff, v13
	v_mad_u64_u32 v[16:17], s[4:5], v15, s3, v[14:15]
	v_ashrrev_i32_e32 v17, 31, v16
	v_or_b32_e32 v13, 0x80, v14
	v_lshl_add_u64 v[30:31], v[16:17], 2, s[16:17]
	;; [unrolled: 10-line block ×5, first 2 shown]
	v_mul_lo_u16_e32 v22, 57, v13
	v_lshrrev_b16_e32 v22, 11, v22
	v_add_u32_e32 v23, v21, v22
	v_mul_lo_u16_e32 v22, 36, v22
	v_sub_u16_e32 v13, v13, v22
	v_and_b32_e32 v22, 0xff, v13
	v_mad_u64_u32 v[38:39], s[4:5], v23, s3, v[22:23]
	v_ashrrev_i32_e32 v39, 31, v38
	v_lshl_add_u64 v[38:39], v[38:39], 2, s[16:17]
	global_load_dword v13, v[24:25], off
	global_load_dword v43, v[26:27], off
	;; [unrolled: 1-line block ×8, first 2 shown]
	v_or_b32_e32 v24, 0x80, v22
	v_mul_lo_u16_e32 v25, 57, v24
	v_lshrrev_b16_e32 v25, 11, v25
	v_add_u32_e32 v29, v23, v25
	v_mul_lo_u16_e32 v25, 36, v25
	v_sub_u16_e32 v24, v24, v25
	v_and_b32_e32 v24, 0xff, v24
	v_mad_u64_u32 v[26:27], s[4:5], v29, s3, v[24:25]
	v_or_b32_e32 v25, 0x80, v24
	v_mul_lo_u16_e32 v28, 57, v25
	v_lshrrev_b16_e32 v28, 11, v28
	v_add_u32_e32 v33, v29, v28
	v_mul_lo_u16_e32 v28, 36, v28
	v_sub_u16_e32 v25, v25, v28
	v_and_b32_e32 v28, 0xff, v25
	v_or_b32_e32 v25, 0x80, v28
	v_mul_lo_u16_e32 v32, 57, v25
	v_lshrrev_b16_e32 v32, 11, v32
	v_add_u32_e32 v36, v33, v32
	v_mul_lo_u16_e32 v32, 36, v32
	v_sub_u16_e32 v25, v25, v32
	v_and_b32_e32 v32, 0xff, v25
	v_ashrrev_i32_e32 v27, 31, v26
	v_mad_u64_u32 v[30:31], s[4:5], v33, s3, v[28:29]
	v_mad_u64_u32 v[34:35], s[4:5], v36, s3, v[32:33]
	v_lshl_add_u64 v[26:27], v[26:27], 2, s[16:17]
	v_ashrrev_i32_e32 v31, 31, v30
	v_ashrrev_i32_e32 v35, 31, v34
	v_lshl_add_u64 v[30:31], v[30:31], 2, s[16:17]
	v_lshl_add_u64 v[34:35], v[34:35], 2, s[16:17]
	global_load_dword v25, v[26:27], off
	global_load_dword v37, v[30:31], off
	;; [unrolled: 1-line block ×3, first 2 shown]
	v_or_b32_e32 v26, 0x80, v32
	v_mul_lo_u16_e32 v27, 57, v26
	v_lshrrev_b16_e32 v27, 11, v27
	v_add_u32_e32 v34, v36, v27
	v_mul_lo_u16_e32 v27, 36, v27
	v_sub_u16_e32 v26, v26, v27
	v_and_b32_e32 v26, 0xff, v26
	v_mad_u64_u32 v[30:31], s[4:5], v34, s3, v[26:27]
	v_ashrrev_i32_e32 v31, 31, v30
	v_lshl_add_u64 v[30:31], v[30:31], 2, s[16:17]
	global_load_dword v27, v[30:31], off
	ds_write_b32 v1, v11
	v_mul_lo_u32 v1, v3, s7
	v_add3_u32 v1, 0, v1, v2
	ds_write_b32 v1, v9
	v_mul_lo_u32 v1, v5, s7
	v_lshlrev_b32_e32 v2, 2, v6
	v_add3_u32 v1, 0, v1, v2
	s_waitcnt vmcnt(12)
	ds_write_b32 v1, v7
	v_mul_lo_u32 v1, v40, s7
	v_lshlrev_b32_e32 v2, 2, v8
	v_add3_u32 v1, 0, v1, v2
	v_lshlrev_b32_e32 v2, 2, v10
	s_waitcnt vmcnt(11)
	ds_write_b32 v1, v13
	v_mul_lo_u32 v1, v41, s7
	v_add3_u32 v1, 0, v1, v2
	s_waitcnt vmcnt(10)
	ds_write_b32 v1, v43
	v_mul_lo_u32 v1, v42, s7
	v_lshlrev_b32_e32 v2, 2, v12
	v_add3_u32 v1, 0, v1, v2
	s_waitcnt vmcnt(9)
	ds_write_b32 v1, v44
	v_mul_lo_u32 v1, v15, s7
	v_lshlrev_b32_e32 v2, 2, v14
	;; [unrolled: 5-line block ×7, first 2 shown]
	v_add3_u32 v1, 0, v1, v2
	v_lshlrev_b32_e32 v2, 2, v28
	s_waitcnt vmcnt(3)
	ds_write_b32 v1, v25
	v_mul_lo_u32 v1, v33, s7
	v_add3_u32 v1, 0, v1, v2
	s_waitcnt vmcnt(2)
	ds_write_b32 v1, v37
	v_mul_lo_u32 v1, v36, s7
	v_lshlrev_b32_e32 v2, 2, v32
	v_add3_u32 v1, 0, v1, v2
	s_waitcnt vmcnt(1)
	ds_write_b32 v1, v38
	v_mul_lo_u32 v1, v34, s7
	v_lshlrev_b32_e32 v2, 2, v26
	v_add3_u32 v1, 0, v1, v2
	v_or_b32_e32 v2, 0x80, v26
	s_waitcnt vmcnt(0)
	ds_write_b32 v1, v27
	v_mul_lo_u16_e32 v1, 57, v2
	v_lshrrev_b16_e32 v3, 11, v1
	v_add_u32_e32 v1, v34, v3
	v_mul_lo_u16_e32 v3, 36, v3
	v_sub_u16_e32 v2, v2, v3
	v_and_b32_e32 v2, 0xff, v2
	v_cmp_gt_u32_e32 vcc, s6, v1
	s_and_saveexec_b64 s[4:5], vcc
	s_cbranch_execz .LBB5_2
; %bb.1:
	v_mad_u64_u32 v[4:5], s[8:9], v1, s3, v[2:3]
	v_ashrrev_i32_e32 v5, 31, v4
	v_lshl_add_u64 v[4:5], v[4:5], 2, s[16:17]
	global_load_dword v3, v[4:5], off
	v_mul_lo_u32 v4, v1, s7
	v_lshlrev_b32_e32 v5, 2, v2
	v_add3_u32 v4, 0, v4, v5
	s_waitcnt vmcnt(0)
	ds_write_b32 v4, v3
.LBB5_2:
	s_or_b64 exec, exec, s[4:5]
	v_or_b32_e32 v2, 0x80, v2
	v_mul_lo_u16_e32 v3, 57, v2
	v_lshrrev_b16_e32 v3, 11, v3
	v_add_u32_e32 v1, v1, v3
	v_mul_lo_u16_e32 v3, 36, v3
	v_sub_u16_e32 v2, v2, v3
	v_and_b32_e32 v2, 0xff, v2
	v_cmp_gt_u32_e32 vcc, s6, v1
	s_and_saveexec_b64 s[4:5], vcc
	s_cbranch_execz .LBB5_4
; %bb.3:
	v_mad_u64_u32 v[4:5], s[6:7], v1, s3, v[2:3]
	v_ashrrev_i32_e32 v5, 31, v4
	v_lshl_add_u64 v[4:5], v[4:5], 2, s[16:17]
	global_load_dword v3, v[4:5], off
	s_movk_i32 s6, 0x90
	v_mul_lo_u32 v4, v1, s6
	v_lshlrev_b32_e32 v5, 2, v2
	v_add3_u32 v4, 0, v4, v5
	s_waitcnt vmcnt(0)
	ds_write_b32 v4, v3
.LBB5_4:
	s_or_b64 exec, exec, s[4:5]
	v_or_b32_e32 v2, 0x80, v2
	v_mul_lo_u16_e32 v3, 57, v2
	v_lshrrev_b16_e32 v3, 11, v3
	v_add_u32_e32 v1, v1, v3
	v_mul_lo_u16_e32 v3, 36, v3
	s_movk_i32 s6, 0x80
	v_sub_u16_e32 v2, v2, v3
	v_and_b32_e32 v2, 0xff, v2
	v_cmp_gt_u32_e32 vcc, s6, v1
	s_and_saveexec_b64 s[4:5], vcc
	s_cbranch_execz .LBB5_6
; %bb.5:
	v_mad_u64_u32 v[4:5], s[8:9], v1, s3, v[2:3]
	v_ashrrev_i32_e32 v5, 31, v4
	v_lshl_add_u64 v[4:5], v[4:5], 2, s[16:17]
	global_load_dword v3, v[4:5], off
	s_movk_i32 s7, 0x90
	v_mul_lo_u32 v4, v1, s7
	v_lshlrev_b32_e32 v5, 2, v2
	v_add3_u32 v4, 0, v4, v5
	s_waitcnt vmcnt(0)
	ds_write_b32 v4, v3
.LBB5_6:
	s_or_b64 exec, exec, s[4:5]
	v_or_b32_e32 v2, 0x80, v2
	v_mul_lo_u16_e32 v3, 57, v2
	v_lshrrev_b16_e32 v3, 11, v3
	v_add_u32_e32 v1, v1, v3
	v_mul_lo_u16_e32 v3, 36, v3
	v_sub_u16_e32 v2, v2, v3
	v_and_b32_e32 v2, 0xff, v2
	v_cmp_gt_u32_e32 vcc, s6, v1
	s_and_saveexec_b64 s[4:5], vcc
	s_cbranch_execz .LBB5_8
; %bb.7:
	v_mad_u64_u32 v[4:5], s[6:7], v1, s3, v[2:3]
	v_ashrrev_i32_e32 v5, 31, v4
	v_lshl_add_u64 v[4:5], v[4:5], 2, s[16:17]
	global_load_dword v3, v[4:5], off
	s_movk_i32 s6, 0x90
	v_mul_lo_u32 v4, v1, s6
	v_lshlrev_b32_e32 v5, 2, v2
	v_add3_u32 v4, 0, v4, v5
	s_waitcnt vmcnt(0)
	ds_write_b32 v4, v3
.LBB5_8:
	s_or_b64 exec, exec, s[4:5]
	v_or_b32_e32 v2, 0x80, v2
	v_mul_lo_u16_e32 v3, 57, v2
	v_lshrrev_b16_e32 v3, 11, v3
	v_add_u32_e32 v1, v1, v3
	v_mul_lo_u16_e32 v3, 36, v3
	s_movk_i32 s6, 0x80
	v_sub_u16_e32 v2, v2, v3
	v_and_b32_e32 v2, 0xff, v2
	v_cmp_gt_u32_e32 vcc, s6, v1
	s_and_saveexec_b64 s[4:5], vcc
	s_cbranch_execz .LBB5_10
; %bb.9:
	v_mad_u64_u32 v[4:5], s[8:9], v1, s3, v[2:3]
	v_ashrrev_i32_e32 v5, 31, v4
	v_lshl_add_u64 v[4:5], v[4:5], 2, s[16:17]
	global_load_dword v3, v[4:5], off
	s_movk_i32 s7, 0x90
	v_mul_lo_u32 v4, v1, s7
	v_lshlrev_b32_e32 v5, 2, v2
	v_add3_u32 v4, 0, v4, v5
	s_waitcnt vmcnt(0)
	ds_write_b32 v4, v3
.LBB5_10:
	;; [unrolled: 47-line block ×4, first 2 shown]
	s_or_b64 exec, exec, s[4:5]
	s_load_dwordx4 s[4:7], s[0:1], 0x8
	s_load_dwordx2 s[8:9], s[0:1], 0x28
	s_movk_i32 s10, 0x380
	v_cmp_gt_u32_e32 vcc, s10, v0
	s_and_saveexec_b64 s[18:19], vcc
	s_cbranch_execz .LBB5_39
; %bb.19:
	v_or_b32_e32 v2, 0x80, v2
	v_mul_lo_u16_e32 v3, 57, v2
	v_lshrrev_b16_e32 v3, 11, v3
	v_add_u32_e32 v1, v1, v3
	v_mul_lo_u16_e32 v3, 36, v3
	s_movk_i32 s10, 0x80
	v_sub_u16_e32 v2, v2, v3
	v_and_b32_e32 v2, 0xff, v2
	v_cmp_gt_u32_e32 vcc, s10, v1
	s_and_saveexec_b64 s[20:21], vcc
	s_cbranch_execz .LBB5_21
; %bb.20:
	v_mad_u64_u32 v[4:5], s[22:23], v1, s3, v[2:3]
	v_ashrrev_i32_e32 v5, 31, v4
	v_lshl_add_u64 v[4:5], v[4:5], 2, s[16:17]
	global_load_dword v3, v[4:5], off
	s_movk_i32 s10, 0x90
	v_mul_lo_u32 v4, v1, s10
	v_lshlrev_b32_e32 v5, 2, v2
	v_add3_u32 v4, 0, v4, v5
	s_waitcnt vmcnt(0)
	ds_write_b32 v4, v3
.LBB5_21:
	s_or_b64 exec, exec, s[20:21]
	s_movk_i32 s10, 0x300
	v_cmp_gt_u32_e32 vcc, s10, v0
	s_and_b64 exec, exec, vcc
	s_cbranch_execz .LBB5_39
; %bb.22:
	v_or_b32_e32 v2, 0x80, v2
	v_mul_lo_u16_e32 v3, 57, v2
	v_lshrrev_b16_e32 v3, 11, v3
	v_add_u32_e32 v1, v1, v3
	v_mul_lo_u16_e32 v3, 36, v3
	s_movk_i32 s10, 0x80
	v_sub_u16_e32 v2, v2, v3
	v_and_b32_e32 v2, 0xff, v2
	v_cmp_gt_u32_e32 vcc, s10, v1
	s_and_saveexec_b64 s[20:21], vcc
	s_cbranch_execz .LBB5_24
; %bb.23:
	v_mad_u64_u32 v[4:5], s[22:23], v1, s3, v[2:3]
	v_ashrrev_i32_e32 v5, 31, v4
	v_lshl_add_u64 v[4:5], v[4:5], 2, s[16:17]
	global_load_dword v3, v[4:5], off
	s_movk_i32 s10, 0x90
	v_mul_lo_u32 v4, v1, s10
	v_lshlrev_b32_e32 v5, 2, v2
	v_add3_u32 v4, 0, v4, v5
	s_waitcnt vmcnt(0)
	ds_write_b32 v4, v3
.LBB5_24:
	s_or_b64 exec, exec, s[20:21]
	s_movk_i32 s10, 0x280
	v_cmp_gt_u32_e32 vcc, s10, v0
	s_and_b64 exec, exec, vcc
	;; [unrolled: 29-line block ×5, first 2 shown]
	s_cbranch_execz .LBB5_39
; %bb.34:
	v_or_b32_e32 v2, 0x80, v2
	v_mul_lo_u16_e32 v3, 57, v2
	v_lshrrev_b16_e32 v3, 11, v3
	v_add_u32_e32 v1, v1, v3
	v_mul_lo_u16_e32 v3, 36, v3
	s_movk_i32 s10, 0x80
	v_sub_u16_e32 v2, v2, v3
	v_and_b32_e32 v2, 0xff, v2
	v_cmp_gt_u32_e32 vcc, s10, v1
	s_and_saveexec_b64 s[20:21], vcc
	s_cbranch_execz .LBB5_36
; %bb.35:
	v_mad_u64_u32 v[4:5], s[22:23], v1, s3, v[2:3]
	v_ashrrev_i32_e32 v5, 31, v4
	v_lshl_add_u64 v[4:5], v[4:5], 2, s[16:17]
	global_load_dword v3, v[4:5], off
	s_movk_i32 s22, 0x90
	v_mul_lo_u32 v4, v1, s22
	v_lshlrev_b32_e32 v5, 2, v2
	v_add3_u32 v4, 0, v4, v5
	s_waitcnt vmcnt(0)
	ds_write_b32 v4, v3
.LBB5_36:
	s_or_b64 exec, exec, s[20:21]
	v_cmp_gt_u32_e32 vcc, s10, v0
	s_and_b64 exec, exec, vcc
	s_cbranch_execz .LBB5_39
; %bb.37:
	v_or_b32_e32 v2, 0x80, v2
	v_mul_lo_u16_e32 v3, 57, v2
	v_lshrrev_b16_e32 v3, 11, v3
	v_add_u32_e32 v1, v1, v3
	v_cmp_gt_u32_e32 vcc, s10, v1
	s_and_b64 exec, exec, vcc
	s_cbranch_execz .LBB5_39
; %bb.38:
	v_mul_lo_u16_e32 v3, 36, v3
	v_sub_u16_e32 v2, v2, v3
	v_and_b32_e32 v2, 0xff, v2
	v_mad_u64_u32 v[4:5], s[20:21], v1, s3, v[2:3]
	v_ashrrev_i32_e32 v5, 31, v4
	v_lshl_add_u64 v[4:5], v[4:5], 2, s[16:17]
	global_load_dword v3, v[4:5], off
	s_movk_i32 s3, 0x90
	v_mul_lo_u32 v1, v1, s3
	v_lshlrev_b32_e32 v2, 2, v2
	v_add3_u32 v1, 0, v1, v2
	s_waitcnt vmcnt(0)
	ds_write_b32 v1, v3
.LBB5_39:
	s_or_b64 exec, exec, s[18:19]
	s_ashr_i32 s3, s11, 31
	s_mul_hi_u32 s10, s12, s11
	s_mul_i32 s3, s12, s3
	s_add_i32 s3, s10, s3
	s_mul_i32 s10, s13, s11
	s_add_i32 s3, s3, s10
	s_mul_i32 s10, s12, s11
	s_waitcnt lgkmcnt(0)
	s_add_u32 s4, s4, s10
	s_addc_u32 s5, s5, s3
	s_ashr_i32 s3, s11, 2
	v_mul_lo_u32 v2, s3, v0
	v_ashrrev_i32_e32 v3, 31, v2
	v_lshl_add_u64 v[8:9], v[2:3], 2, s[4:5]
	s_barrier
	global_load_dword v7, v[8:9], off offset:16
	global_load_dwordx4 v[2:5], v[8:9], off
	s_cmp_eq_u64 s[6:7], 0
	v_lshlrev_b32_e32 v12, 2, v0
	s_cbranch_scc1 .LBB5_41
; %bb.40:
	s_lshl_b64 s[4:5], s[12:13], 2
	s_add_u32 s4, s6, s4
	s_addc_u32 s5, s7, s5
	global_load_dword v8, v12, s[4:5]
	s_branch .LBB5_42
.LBB5_41:
	v_mov_b32_e32 v8, 0
.LBB5_42:
	s_load_dwordx2 s[4:5], s[0:1], 0x40
	s_waitcnt lgkmcnt(0)
	s_sub_u32 s10, s4, s14
	s_subb_u32 s11, s5, s15
	v_cmp_lt_i64_e64 s[4:5], s[10:11], 1
	s_and_b64 vcc, exec, s[4:5]
	s_cbranch_vccnz .LBB5_50
; %bb.43:
	s_load_dwordx4 s[4:7], s[0:1], 0x30
	s_waitcnt vmcnt(0)
	v_mov_b32_e32 v10, v3
	v_mov_b32_e32 v11, v4
	;; [unrolled: 1-line block ×3, first 2 shown]
	v_mul_u32_u24_e32 v24, 0x90, v0
	s_waitcnt lgkmcnt(0)
	s_ashr_i32 s0, s5, 31
	s_mul_hi_u32 s1, s14, s5
	s_mul_i32 s0, s14, s0
	s_add_i32 s0, s1, s0
	s_mul_i32 s1, s15, s5
	s_add_i32 s15, s0, s1
	s_ashr_i32 s0, s4, 31
	s_mul_hi_u32 s1, s12, s4
	s_mul_i32 s0, s12, s0
	s_mul_i32 s16, s6, s2
	s_add_i32 s0, s1, s0
	s_mul_i32 s1, s13, s4
	s_ashr_i32 s17, s16, 31
	s_add_i32 s13, s0, s1
	s_ashr_i32 s2, s5, 2
	v_cmp_lt_u64_e64 s[0:1], s[10:11], 32
	s_and_b64 s[0:1], s[0:1], exec
	s_cselect_b32 s7, s11, 0
	s_cselect_b32 s6, s10, 32
	s_cmp_eq_u64 s[10:11], 1
	s_cselect_b64 s[0:1], -1, 0
	s_cmp_lg_u32 s2, 1
	s_cselect_b64 s[10:11], -1, 0
	s_or_b64 s[0:1], s[0:1], s[10:11]
	s_mul_i32 s14, s14, s5
	s_mul_i32 s12, s12, s4
	v_mov_b32_e32 v13, 0
	s_mov_b32 s5, 0
	s_and_b64 vcc, exec, s[0:1]
	s_cbranch_vccnz .LBB5_47
; %bb.44:
	s_add_u32 s0, s8, s16
	s_addc_u32 s1, s9, s17
	v_add_u32_e32 v25, 0, v24
	s_add_u32 s0, s0, s14
	ds_read2_b32 v[22:23], v25 offset1:1
	s_addc_u32 s1, s1, s15
	s_add_u32 s0, s0, s12
	s_addc_u32 s1, s1, s13
	s_and_b32 s4, s6, 62
	v_lshl_add_u64 v[0:1], s[0:1], 0, v[12:13]
	v_mov_b32_e32 v14, v2
	v_mov_b32_e32 v15, v2
	v_mov_b32_e32 v16, v10
	v_mov_b32_e32 v17, v3
	v_mov_b32_e32 v18, v4
	v_mov_b32_e32 v19, v11
	v_mov_b32_e32 v4, v6
	v_mov_b32_e32 v20, v7
	v_mov_b32_e32 v21, v7
	v_mov_b32_e32 v9, v8
	s_mov_b32 s3, 0xbfb8aa3b
	s_mov_b32 s18, 0x42ce8ed0
	;; [unrolled: 1-line block ×3, first 2 shown]
	v_mov_b32_e32 v3, 0x7f800000
	s_mov_b64 s[10:11], s[4:5]
.LBB5_45:                               ; =>This Inner Loop Header: Depth=1
	s_waitcnt lgkmcnt(0)
	v_pk_fma_f32 v[26:27], v[14:15], v[22:23], 0 op_sel_hi:[1,1,0]
	ds_read2_b32 v[28:29], v25 offset0:1 offset1:2
	ds_read2_b32 v[22:23], v25 offset0:2 offset1:3
	ds_read2_b32 v[30:31], v25 offset0:3 offset1:4
	ds_read2_b32 v[32:33], v25 offset0:4 offset1:5
	v_add_u32_e32 v13, 8, v25
	s_waitcnt lgkmcnt(3)
	v_pk_fma_f32 v[26:27], v[16:17], v[28:29], v[26:27]
	v_mov_b32_e32 v25, v13
	s_waitcnt lgkmcnt(2)
	v_pk_fma_f32 v[26:27], v[18:19], v[22:23], v[26:27]
	s_add_u32 s10, s10, -2
	s_waitcnt lgkmcnt(1)
	v_pk_fma_f32 v[26:27], v[4:5], v[30:31], v[26:27]
	s_addc_u32 s11, s11, -1
	s_waitcnt lgkmcnt(0)
	v_pk_fma_f32 v[26:27], v[20:21], v[32:33], v[26:27]
	s_cmp_lg_u64 s[10:11], 0
	v_pk_add_f32 v[26:27], v[8:9], v[26:27]
	s_nop 0
	v_mul_f32_e32 v13, 0xbfb8aa3b, v27
	v_mul_f32_e32 v28, 0xbfb8aa3b, v26
	v_fma_f32 v29, v27, s3, -v13
	v_rndne_f32_e32 v30, v13
	v_fma_f32 v31, v26, s3, -v28
	v_rndne_f32_e32 v32, v28
	v_fmac_f32_e32 v29, 0xb2a5705f, v27
	v_sub_f32_e32 v13, v13, v30
	v_fmac_f32_e32 v31, 0xb2a5705f, v26
	v_sub_f32_e32 v28, v28, v32
	v_add_f32_e32 v13, v13, v29
	v_add_f32_e32 v28, v28, v31
	v_cvt_i32_f32_e32 v30, v30
	v_cvt_i32_f32_e32 v32, v32
	v_exp_f32_e32 v13, v13
	v_exp_f32_e32 v28, v28
	v_cmp_nlt_f32_e32 vcc, s18, v26
	v_cmp_nlt_f32_e64 s[0:1], s18, v27
	v_ldexp_f32 v13, v13, v30
	v_ldexp_f32 v28, v28, v32
	v_cndmask_b32_e64 v13, 0, v13, s[0:1]
	v_cndmask_b32_e32 v28, 0, v28, vcc
	v_cmp_ngt_f32_e32 vcc, s19, v26
	v_cmp_ngt_f32_e64 s[0:1], s19, v27
	s_nop 0
	v_cndmask_b32_e32 v28, v3, v28, vcc
	v_cndmask_b32_e64 v29, v3, v13, s[0:1]
	v_pk_add_f32 v[28:29], v[28:29], 1.0 op_sel_hi:[1,0]
	s_nop 0
	v_div_scale_f32 v13, s[0:1], v29, v29, v27
	v_div_scale_f32 v31, s[0:1], v28, v28, v26
	v_rcp_f32_e32 v33, v13
	v_rcp_f32_e32 v34, v31
	v_div_scale_f32 v30, vcc, v27, v29, v27
	v_fma_f32 v35, -v13, v33, 1.0
	v_fma_f32 v36, -v31, v34, 1.0
	v_fmac_f32_e32 v33, v35, v33
	v_div_scale_f32 v32, s[0:1], v26, v28, v26
	v_fmac_f32_e32 v34, v36, v34
	v_mul_f32_e32 v35, v30, v33
	v_mul_f32_e32 v36, v32, v34
	v_fma_f32 v37, -v13, v35, v30
	v_fma_f32 v38, -v31, v36, v32
	v_fmac_f32_e32 v35, v37, v33
	v_fmac_f32_e32 v36, v38, v34
	v_fma_f32 v13, -v13, v35, v30
	v_fma_f32 v30, -v31, v36, v32
	v_div_fmas_f32 v13, v13, v33, v35
	s_mov_b64 vcc, s[0:1]
	v_div_fixup_f32 v27, v13, v29, v27
	v_div_fmas_f32 v13, v30, v34, v36
	v_div_fixup_f32 v26, v13, v28, v26
	global_store_dwordx2 v[0:1], v[26:27], off
	v_lshl_add_u64 v[0:1], v[0:1], 0, 8
	s_cbranch_scc1 .LBB5_45
; %bb.46:
	s_cmp_lg_u64 s[6:7], s[4:5]
	s_cselect_b64 s[0:1], -1, 0
	s_and_b64 vcc, exec, s[0:1]
	s_cbranch_vccnz .LBB5_48
	s_branch .LBB5_50
.LBB5_47:
	s_mov_b64 s[4:5], 0
	s_cbranch_execz .LBB5_50
.LBB5_48:
	s_ashr_i32 s3, s2, 31
	s_sub_u32 s0, s6, s4
	s_subb_u32 s1, s7, s5
	s_add_u32 s5, s12, s14
	s_mul_hi_i32 s7, s4, s2
	s_mul_i32 s6, s4, s2
	s_addc_u32 s10, s13, s15
	s_lshl_b64 s[6:7], s[6:7], 2
	s_add_u32 s5, s5, s6
	s_addc_u32 s7, s10, s7
	s_add_u32 s6, s8, s16
	s_addc_u32 s8, s9, s17
	;; [unrolled: 2-line block ×3, first 2 shown]
	s_lshl_b32 s4, s4, 2
	s_add_i32 s4, s4, 0
	v_add_u32_e32 v9, s4, v24
	ds_read_b32 v4, v9
	v_mov_b32_e32 v13, 0
	v_lshl_add_u64 v[0:1], s[6:7], 0, v[12:13]
	s_lshl_b64 s[2:3], s[2:3], 2
	s_mov_b32 s4, 0xbfb8aa3b
	s_mov_b32 s5, 0x42ce8ed0
	;; [unrolled: 1-line block ×3, first 2 shown]
	v_mov_b32_e32 v3, 0x7f800000
.LBB5_49:                               ; =>This Inner Loop Header: Depth=1
	s_waitcnt lgkmcnt(0)
	v_fma_f32 v16, v2, v4, 0
	ds_read2_b32 v[4:5], v9 offset0:1 offset1:2
	ds_read2_b32 v[12:13], v9 offset0:3 offset1:4
	v_add_u32_e32 v14, 4, v9
	v_mov_b32_e32 v9, v14
	s_add_u32 s0, s0, -1
	s_waitcnt lgkmcnt(1)
	v_pk_mul_f32 v[14:15], v[10:11], v[4:5]
	s_waitcnt lgkmcnt(0)
	v_pk_mul_f32 v[12:13], v[6:7], v[12:13]
	v_add_f32_e32 v5, v16, v14
	v_add_f32_e32 v5, v5, v15
	;; [unrolled: 1-line block ×5, first 2 shown]
	v_mul_f32_e32 v12, 0xbfb8aa3b, v5
	v_fma_f32 v13, v5, s4, -v12
	v_rndne_f32_e32 v14, v12
	v_fmac_f32_e32 v13, 0xb2a5705f, v5
	v_sub_f32_e32 v12, v12, v14
	v_add_f32_e32 v12, v12, v13
	v_cvt_i32_f32_e32 v14, v14
	v_exp_f32_e32 v12, v12
	v_cmp_nlt_f32_e32 vcc, s5, v5
	s_addc_u32 s1, s1, -1
	s_cmp_lg_u64 s[0:1], 0
	v_ldexp_f32 v12, v12, v14
	v_cndmask_b32_e32 v12, 0, v12, vcc
	v_cmp_ngt_f32_e32 vcc, s6, v5
	s_nop 1
	v_cndmask_b32_e32 v12, v3, v12, vcc
	v_add_f32_e32 v12, 1.0, v12
	v_div_scale_f32 v13, s[8:9], v12, v12, v5
	v_rcp_f32_e32 v14, v13
	v_div_scale_f32 v15, vcc, v5, v12, v5
	v_fma_f32 v16, -v13, v14, 1.0
	v_fmac_f32_e32 v14, v16, v14
	v_mul_f32_e32 v16, v15, v14
	v_fma_f32 v17, -v13, v16, v15
	v_fmac_f32_e32 v16, v17, v14
	v_fma_f32 v13, -v13, v16, v15
	v_div_fmas_f32 v13, v13, v14, v16
	v_div_fixup_f32 v5, v13, v12, v5
	global_store_dword v[0:1], v5, off
	v_lshl_add_u64 v[0:1], v[0:1], 0, s[2:3]
	s_cbranch_scc1 .LBB5_49
.LBB5_50:
	s_endpgm
	.section	.rodata,"a",@progbits
	.p2align	6, 0x0
	.amdhsa_kernel _ZL23ssm_conv_long_token_f32ILb1ELm128ELm5ELl32EEvPKfS1_S1_iiiiPfiiil
		.amdhsa_group_segment_fixed_size 0
		.amdhsa_private_segment_fixed_size 0
		.amdhsa_kernarg_size 72
		.amdhsa_user_sgpr_count 2
		.amdhsa_user_sgpr_dispatch_ptr 0
		.amdhsa_user_sgpr_queue_ptr 0
		.amdhsa_user_sgpr_kernarg_segment_ptr 1
		.amdhsa_user_sgpr_dispatch_id 0
		.amdhsa_user_sgpr_kernarg_preload_length 0
		.amdhsa_user_sgpr_kernarg_preload_offset 0
		.amdhsa_user_sgpr_private_segment_size 0
		.amdhsa_uses_dynamic_stack 0
		.amdhsa_enable_private_segment 0
		.amdhsa_system_sgpr_workgroup_id_x 1
		.amdhsa_system_sgpr_workgroup_id_y 1
		.amdhsa_system_sgpr_workgroup_id_z 1
		.amdhsa_system_sgpr_workgroup_info 0
		.amdhsa_system_vgpr_workitem_id 0
		.amdhsa_next_free_vgpr 50
		.amdhsa_next_free_sgpr 24
		.amdhsa_accum_offset 52
		.amdhsa_reserve_vcc 1
		.amdhsa_float_round_mode_32 0
		.amdhsa_float_round_mode_16_64 0
		.amdhsa_float_denorm_mode_32 3
		.amdhsa_float_denorm_mode_16_64 3
		.amdhsa_dx10_clamp 1
		.amdhsa_ieee_mode 1
		.amdhsa_fp16_overflow 0
		.amdhsa_tg_split 0
		.amdhsa_exception_fp_ieee_invalid_op 0
		.amdhsa_exception_fp_denorm_src 0
		.amdhsa_exception_fp_ieee_div_zero 0
		.amdhsa_exception_fp_ieee_overflow 0
		.amdhsa_exception_fp_ieee_underflow 0
		.amdhsa_exception_fp_ieee_inexact 0
		.amdhsa_exception_int_div_zero 0
	.end_amdhsa_kernel
	.section	.text._ZL23ssm_conv_long_token_f32ILb1ELm128ELm5ELl32EEvPKfS1_S1_iiiiPfiiil,"axG",@progbits,_ZL23ssm_conv_long_token_f32ILb1ELm128ELm5ELl32EEvPKfS1_S1_iiiiPfiiil,comdat
.Lfunc_end5:
	.size	_ZL23ssm_conv_long_token_f32ILb1ELm128ELm5ELl32EEvPKfS1_S1_iiiiPfiiil, .Lfunc_end5-_ZL23ssm_conv_long_token_f32ILb1ELm128ELm5ELl32EEvPKfS1_S1_iiiiPfiiil
                                        ; -- End function
	.set _ZL23ssm_conv_long_token_f32ILb1ELm128ELm5ELl32EEvPKfS1_S1_iiiiPfiiil.num_vgpr, 50
	.set _ZL23ssm_conv_long_token_f32ILb1ELm128ELm5ELl32EEvPKfS1_S1_iiiiPfiiil.num_agpr, 0
	.set _ZL23ssm_conv_long_token_f32ILb1ELm128ELm5ELl32EEvPKfS1_S1_iiiiPfiiil.numbered_sgpr, 24
	.set _ZL23ssm_conv_long_token_f32ILb1ELm128ELm5ELl32EEvPKfS1_S1_iiiiPfiiil.num_named_barrier, 0
	.set _ZL23ssm_conv_long_token_f32ILb1ELm128ELm5ELl32EEvPKfS1_S1_iiiiPfiiil.private_seg_size, 0
	.set _ZL23ssm_conv_long_token_f32ILb1ELm128ELm5ELl32EEvPKfS1_S1_iiiiPfiiil.uses_vcc, 1
	.set _ZL23ssm_conv_long_token_f32ILb1ELm128ELm5ELl32EEvPKfS1_S1_iiiiPfiiil.uses_flat_scratch, 0
	.set _ZL23ssm_conv_long_token_f32ILb1ELm128ELm5ELl32EEvPKfS1_S1_iiiiPfiiil.has_dyn_sized_stack, 0
	.set _ZL23ssm_conv_long_token_f32ILb1ELm128ELm5ELl32EEvPKfS1_S1_iiiiPfiiil.has_recursion, 0
	.set _ZL23ssm_conv_long_token_f32ILb1ELm128ELm5ELl32EEvPKfS1_S1_iiiiPfiiil.has_indirect_call, 0
	.section	.AMDGPU.csdata,"",@progbits
; Kernel info:
; codeLenInByte = 5384
; TotalNumSgprs: 30
; NumVgprs: 50
; NumAgprs: 0
; TotalNumVgprs: 50
; ScratchSize: 0
; MemoryBound: 0
; FloatMode: 240
; IeeeMode: 1
; LDSByteSize: 0 bytes/workgroup (compile time only)
; SGPRBlocks: 3
; VGPRBlocks: 6
; NumSGPRsForWavesPerEU: 30
; NumVGPRsForWavesPerEU: 50
; AccumOffset: 52
; Occupancy: 8
; WaveLimiterHint : 0
; COMPUTE_PGM_RSRC2:SCRATCH_EN: 0
; COMPUTE_PGM_RSRC2:USER_SGPR: 2
; COMPUTE_PGM_RSRC2:TRAP_HANDLER: 0
; COMPUTE_PGM_RSRC2:TGID_X_EN: 1
; COMPUTE_PGM_RSRC2:TGID_Y_EN: 1
; COMPUTE_PGM_RSRC2:TGID_Z_EN: 1
; COMPUTE_PGM_RSRC2:TIDIG_COMP_CNT: 0
; COMPUTE_PGM_RSRC3_GFX90A:ACCUM_OFFSET: 12
; COMPUTE_PGM_RSRC3_GFX90A:TG_SPLIT: 0
	.section	.text._ZL12ssm_conv_f32ILb1ELm128ELm9EEvPKfS1_S1_iiiiPfiiil,"axG",@progbits,_ZL12ssm_conv_f32ILb1ELm128ELm9EEvPKfS1_S1_iiiiPfiiil,comdat
	.globl	_ZL12ssm_conv_f32ILb1ELm128ELm9EEvPKfS1_S1_iiiiPfiiil ; -- Begin function _ZL12ssm_conv_f32ILb1ELm128ELm9EEvPKfS1_S1_iiiiPfiiil
	.p2align	8
	.type	_ZL12ssm_conv_f32ILb1ELm128ELm9EEvPKfS1_S1_iiiiPfiiil,@function
_ZL12ssm_conv_f32ILb1ELm128ELm9EEvPKfS1_S1_iiiiPfiiil: ; @_ZL12ssm_conv_f32ILb1ELm128ELm9EEvPKfS1_S1_iiiiPfiiil
; %bb.0:
	s_load_dwordx4 s[12:15], s[0:1], 0x1c
	s_load_dwordx4 s[4:7], s[0:1], 0x0
	s_load_dwordx2 s[10:11], s[0:1], 0x10
	s_mov_b32 s8, s3
	s_ashr_i32 s9, s3, 31
	s_lshl_b64 s[16:17], s[8:9], 7
	s_waitcnt lgkmcnt(0)
	s_ashr_i32 s3, s14, 31
	s_mul_i32 s3, s16, s3
	s_mul_hi_u32 s15, s16, s14
	s_lshr_b64 s[8:9], s[8:9], 25
	s_add_i32 s3, s15, s3
	s_mul_i32 s8, s8, s14
	s_add_i32 s3, s3, s8
	s_mul_i32 s8, s16, s14
	s_add_u32 s8, s6, s8
	s_addc_u32 s9, s7, s3
	s_cmp_eq_u64 s[10:11], 0
	v_lshlrev_b32_e32 v22, 2, v0
	s_cbranch_scc1 .LBB6_2
; %bb.1:
	s_lshl_b64 s[6:7], s[16:17], 2
	s_add_u32 s6, s10, s6
	s_addc_u32 s7, s11, s7
	global_load_dword v9, v22, s[6:7]
	s_load_dwordx2 s[6:7], s[0:1], 0x40
	s_waitcnt lgkmcnt(0)
	v_cmp_lt_i64_e64 s[10:11], s[6:7], 1
	s_and_b64 vcc, exec, s[10:11]
	s_cbranch_vccz .LBB6_3
	s_branch .LBB6_6
.LBB6_2:
	v_mov_b32_e32 v9, 0
	s_load_dwordx2 s[6:7], s[0:1], 0x40
	s_waitcnt lgkmcnt(0)
	v_cmp_lt_i64_e64 s[10:11], s[6:7], 1
	s_and_b64 vcc, exec, s[10:11]
	s_cbranch_vccnz .LBB6_6
.LBB6_3:
	s_ashr_i32 s3, s14, 2
	v_mul_lo_u32 v2, s3, v0
	v_ashrrev_i32_e32 v3, 31, v2
	v_lshl_add_u64 v[16:17], v[2:3], 2, s[8:9]
	global_load_dwordx4 v[24:27], v[16:17], off offset:16
	global_load_dwordx4 v[10:13], v[16:17], off
	s_load_dwordx2 s[14:15], s[0:1], 0x28
	s_load_dwordx4 s[8:11], s[0:1], 0x30
	s_ashr_i32 s0, s12, 31
	s_mul_hi_u32 s1, s16, s12
	s_mul_i32 s0, s16, s0
	s_mul_i32 s3, s13, s2
	s_add_i32 s0, s1, s0
	s_mul_i32 s1, s17, s12
	s_waitcnt lgkmcnt(0)
	s_mul_i32 s10, s10, s2
	s_ashr_i32 s11, s3, 31
	s_add_i32 s18, s0, s1
	s_ashr_i32 s13, s10, 31
	s_add_u32 s0, s14, s10
	s_addc_u32 s1, s15, s13
	s_ashr_i32 s2, s8, 31
	s_mul_hi_u32 s20, s16, s8
	s_mul_i32 s2, s16, s2
	s_add_i32 s2, s20, s2
	s_mul_i32 s17, s17, s8
	s_add_i32 s17, s2, s17
	s_mul_i32 s8, s16, s8
	s_add_u32 s0, s0, s8
	s_addc_u32 s1, s1, s17
	s_add_u32 s2, s4, s3
	s_mul_i32 s19, s16, s12
	s_addc_u32 s16, s5, s11
	s_add_u32 s20, s2, s19
	s_addc_u32 s21, s16, s18
	s_ashr_i32 s2, s12, 2
	v_mul_lo_u32 v20, s2, v0
	v_ashrrev_i32_e32 v21, 31, v20
	v_lshl_add_u64 v[18:19], v[20:21], 2, s[20:21]
	global_load_dwordx4 v[0:3], v[18:19], off
	global_load_dwordx4 v[4:7], v[18:19], off offset:16
	global_load_dword v8, v[18:19], off offset:32
	global_load_dword v15, v[16:17], off offset:32
	s_mov_b32 s24, 0xbfb8aa3b
	s_mov_b32 s25, 0x42ce8ed0
	;; [unrolled: 1-line block ×3, first 2 shown]
	s_cmp_eq_u64 s[6:7], 1
	s_waitcnt vmcnt(5)
	v_mov_b32_e32 v18, v25
	s_waitcnt vmcnt(4)
	v_mov_b32_e32 v16, v11
	v_mov_b32_e32 v17, v12
	;; [unrolled: 1-line block ×6, first 2 shown]
	s_waitcnt vmcnt(3)
	v_pk_mov_b32 v[24:25], v[0:1], v[2:3] op_sel:[1,0]
	v_fma_f32 v11, v10, v0, 0
	v_pk_mul_f32 v[24:25], v[16:17], v[24:25]
	s_waitcnt vmcnt(2)
	v_pk_mov_b32 v[26:27], v[2:3], v[4:5] op_sel:[1,0]
	v_add_f32_e32 v11, v11, v24
	v_pk_mul_f32 v[26:27], v[12:13], v[26:27]
	v_add_f32_e32 v11, v11, v25
	v_pk_mov_b32 v[28:29], v[4:5], v[6:7] op_sel:[1,0]
	v_add_f32_e32 v11, v11, v26
	v_pk_mul_f32 v[28:29], v[18:19], v[28:29]
	v_add_f32_e32 v11, v11, v27
	v_mov_b32_e32 v30, v7
	s_waitcnt vmcnt(1)
	v_mov_b32_e32 v31, v8
	v_add_f32_e32 v11, v11, v28
	s_waitcnt vmcnt(0)
	v_pk_mul_f32 v[30:31], v[14:15], v[30:31]
	v_add_f32_e32 v11, v11, v29
	v_add_f32_e32 v11, v11, v30
	;; [unrolled: 1-line block ×4, first 2 shown]
	v_mul_f32_e32 v11, 0xbfb8aa3b, v24
	v_fma_f32 v23, v24, s24, -v11
	v_rndne_f32_e32 v25, v11
	v_fmac_f32_e32 v23, 0xb2a5705f, v24
	v_sub_f32_e32 v11, v11, v25
	v_add_f32_e32 v11, v11, v23
	v_cvt_i32_f32_e32 v25, v25
	v_exp_f32_e32 v23, v11
	v_cmp_nlt_f32_e32 vcc, s25, v24
	v_mov_b32_e32 v11, 0x7f800000
	v_ldexp_f32 v23, v23, v25
	v_cndmask_b32_e32 v23, 0, v23, vcc
	v_cmp_ngt_f32_e32 vcc, s26, v24
	s_nop 1
	v_cndmask_b32_e32 v23, v11, v23, vcc
	v_add_f32_e32 v25, 1.0, v23
	v_div_scale_f32 v26, s[20:21], v25, v25, v24
	v_rcp_f32_e32 v27, v26
	v_div_scale_f32 v28, vcc, v24, v25, v24
	v_mov_b32_e32 v23, 0
	v_fma_f32 v29, -v26, v27, 1.0
	v_fmac_f32_e32 v27, v29, v27
	v_mul_f32_e32 v29, v28, v27
	v_fma_f32 v30, -v26, v29, v28
	v_fmac_f32_e32 v29, v30, v27
	v_fma_f32 v26, -v26, v29, v28
	v_div_fmas_f32 v26, v26, v27, v29
	v_div_fixup_f32 v24, v26, v25, v24
	global_store_dword v22, v24, s[0:1]
	s_cbranch_scc1 .LBB6_6
; %bb.4:
	s_ashr_i32 s20, s9, 2
	s_ashr_i32 s21, s20, 31
	s_add_u32 s0, s6, -1
	s_addc_u32 s1, s7, -1
	s_add_u32 s2, s4, s3
	s_addc_u32 s3, s5, s11
	s_add_u32 s2, s2, s19
	s_addc_u32 s3, s3, s18
	v_lshl_add_u64 v[20:21], v[20:21], 2, s[2:3]
	s_lshl_b64 s[2:3], s[20:21], 2
	s_add_u32 s4, s8, s2
	s_addc_u32 s5, s17, s3
	s_add_u32 s6, s14, s10
	s_addc_u32 s7, s15, s13
	;; [unrolled: 2-line block ×3, first 2 shown]
	v_lshl_add_u64 v[20:21], v[20:21], 0, 36
	v_lshl_add_u64 v[22:23], s[4:5], 0, v[22:23]
	s_mov_b64 s[4:5], 1
	s_mov_b64 s[6:7], 0
	;; [unrolled: 1-line block ×10, first 2 shown]
.LBB6_5:                                ; =>This Inner Loop Header: Depth=1
	s_mul_i32 s52, s5, 0x8e38e38f
	s_mul_hi_u32 s56, s4, 0x8e38e38f
	s_mul_hi_u32 s54, s5, 0x8e38e38f
	s_add_u32 s56, s52, s56
	s_mul_i32 s53, s4, 0xe38e38e3
	s_addc_u32 s59, s54, 0
	s_mul_hi_u32 s55, s4, 0xe38e38e3
	s_add_u32 s53, s53, s56
	s_addc_u32 s55, s55, 0
	s_add_u32 s55, s59, s55
	s_mul_i32 s58, s5, 0xe38e38e3
	s_addc_u32 s56, 0, 0
	s_mul_hi_u32 s57, s5, 0xe38e38e3
	s_add_u32 s58, s58, s55
	s_addc_u32 s59, s57, s56
	s_mul_i32 s63, s9, 0x8e38e38f
	s_mul_hi_u32 s64, s8, 0x8e38e38f
	s_lshr_b64 s[68:69], s[58:59], 3
	s_mul_hi_u32 s62, s9, 0x8e38e38f
	s_add_u32 s58, s63, s64
	s_mul_i32 s61, s8, 0xe38e38e3
	s_addc_u32 s62, s62, 0
	s_mul_hi_u32 s60, s8, 0xe38e38e3
	s_add_u32 s58, s61, s58
	s_addc_u32 s60, s60, 0
	s_add_u32 s60, s62, s60
	s_mul_i32 s66, s9, 0xe38e38e3
	s_addc_u32 s61, 0, 0
	global_load_dword v24, v[20:21], off
	s_mul_hi_u32 s65, s9, 0xe38e38e3
	s_add_u32 s62, s66, s60
	s_addc_u32 s63, s65, s61
	s_mul_i32 s74, s11, 0x8e38e38f
	s_mul_hi_u32 s75, s10, 0x8e38e38f
	s_lshr_b64 s[72:73], s[62:63], 3
	s_mul_hi_u32 s71, s11, 0x8e38e38f
	s_add_u32 s63, s74, s75
	s_mul_i32 s70, s10, 0xe38e38e3
	s_addc_u32 s65, s71, 0
	s_mul_hi_u32 s67, s10, 0xe38e38e3
	s_add_u32 s63, s70, s63
	s_addc_u32 s66, s67, 0
	s_add_u32 s65, s65, s66
	s_mul_i32 s77, s11, 0xe38e38e3
	s_addc_u32 s66, 0, 0
	s_mul_hi_u32 s76, s11, 0xe38e38e3
	s_add_u32 s70, s77, s65
	s_addc_u32 s71, s76, s66
	s_mul_i32 s80, s13, 0x8e38e38f
	s_mul_hi_u32 s81, s12, 0x8e38e38f
	s_lshr_b64 s[74:75], s[70:71], 3
	s_mul_hi_u32 s79, s13, 0x8e38e38f
	s_add_u32 s69, s80, s81
	s_mul_i32 s78, s12, 0xe38e38e3
	s_addc_u32 s71, s79, 0
	s_mul_hi_u32 s27, s12, 0xe38e38e3
	s_add_u32 s69, s78, s69
	s_addc_u32 s27, s27, 0
	s_add_u32 s27, s71, s27
	s_mul_i32 s29, s13, 0xe38e38e3
	s_addc_u32 s71, 0, 0
	s_mul_hi_u32 s28, s13, 0xe38e38e3
	s_mul_i32 s70, s68, 9
	s_mul_i32 s68, s72, 9
	s_add_u32 s72, s29, s27
	s_addc_u32 s73, s28, s71
	s_mul_i32 s34, s15, 0x8e38e38f
	s_mul_hi_u32 s35, s14, 0x8e38e38f
	s_lshr_b64 s[28:29], s[72:73], 3
	s_mul_hi_u32 s33, s15, 0x8e38e38f
	s_mul_i32 s27, s28, 9
	s_add_u32 s28, s34, s35
	s_mul_i32 s31, s14, 0xe38e38e3
	s_addc_u32 s29, s33, 0
	s_mul_hi_u32 s30, s14, 0xe38e38e3
	s_add_u32 s28, s31, s28
	s_addc_u32 s28, s30, 0
	s_add_u32 s28, s29, s28
	s_mul_i32 s37, s15, 0xe38e38e3
	s_addc_u32 s29, 0, 0
	s_mul_hi_u32 s36, s15, 0xe38e38e3
	s_add_u32 s28, s37, s28
	s_addc_u32 s29, s36, s29
	s_mul_i32 s41, s17, 0x8e38e38f
	s_mul_hi_u32 s42, s16, 0x8e38e38f
	s_lshr_b64 s[28:29], s[28:29], 3
	s_mul_hi_u32 s40, s17, 0x8e38e38f
	s_mul_i32 s30, s28, 9
	s_add_u32 s28, s41, s42
	s_mul_i32 s39, s16, 0xe38e38e3
	s_addc_u32 s29, s40, 0
	s_mul_hi_u32 s38, s16, 0xe38e38e3
	s_add_u32 s28, s39, s28
	s_addc_u32 s28, s38, 0
	s_add_u32 s28, s29, s28
	s_mul_i32 s44, s17, 0xe38e38e3
	s_addc_u32 s29, 0, 0
	s_mul_hi_u32 s43, s17, 0xe38e38e3
	;; [unrolled: 17-line block ×5, first 2 shown]
	s_add_u32 s28, s65, s28
	s_addc_u32 s29, s64, s29
	s_mul_i32 s76, s7, 0x8e38e38f
	s_mul_hi_u32 s77, s6, 0x8e38e38f
	s_lshr_b64 s[28:29], s[28:29], 3
	s_mul_hi_u32 s75, s7, 0x8e38e38f
	s_mul_i32 s35, s28, 9
	s_add_u32 s28, s76, s77
	s_mul_i32 s67, s6, 0xe38e38e3
	s_addc_u32 s29, s75, 0
	s_mul_hi_u32 s66, s6, 0xe38e38e3
	s_add_u32 s28, s67, s28
	s_addc_u32 s28, s66, 0
	s_add_u32 s28, s29, s28
	s_mul_i32 s69, s74, 9
	s_mul_i32 s74, s7, 0xe38e38e3
	s_addc_u32 s29, 0, 0
	s_mul_hi_u32 s78, s7, 0xe38e38e3
	s_add_u32 s28, s74, s28
	s_addc_u32 s29, s78, s29
	s_lshr_b64 s[28:29], s[28:29], 3
	s_sub_i32 s36, s6, s70
	s_mul_i32 s28, s28, -9
	s_add_i32 s36, s36, 1
	s_add_i32 s28, s6, s28
	s_add_u32 s4, s4, 1
	s_waitcnt vmcnt(0)
	s_set_gpr_idx_on s28, gpr_idx(DST)
	v_mov_b32_e32 v0, v24
	s_set_gpr_idx_off
	s_addc_u32 s5, s5, 0
	s_sub_i32 s28, s6, s35
	s_set_gpr_idx_on s36, gpr_idx(SRC0)
	v_mov_b32_e32 v24, v0
	s_set_gpr_idx_off
	s_sub_i32 s29, s6, s34
	s_add_i32 s28, s28, 2
	s_sub_i32 s33, s6, s33
	v_fma_f32 v27, v10, v24, 0
	s_add_i32 s29, s29, 3
	s_set_gpr_idx_on s28, gpr_idx(SRC0)
	v_mov_b32_e32 v24, v0
	s_set_gpr_idx_off
	s_sub_i32 s31, s6, s31
	s_add_i32 s33, s33, 4
	s_set_gpr_idx_on s29, gpr_idx(SRC0)
	v_mov_b32_e32 v25, v0
	s_set_gpr_idx_off
	s_sub_i32 s30, s6, s30
	s_add_i32 s31, s31, 5
	v_pk_mul_f32 v[24:25], v[16:17], v[24:25]
	s_set_gpr_idx_on s33, gpr_idx(SRC0)
	v_mov_b32_e32 v26, v0
	s_set_gpr_idx_off
	s_sub_i32 s27, s6, s27
	s_add_i32 s30, s30, 6
	v_add_f32_e32 v24, v27, v24
	s_set_gpr_idx_on s31, gpr_idx(SRC0)
	v_mov_b32_e32 v27, v0
	s_set_gpr_idx_off
	s_sub_i32 s34, s6, s69
	s_add_i32 s27, s27, 7
	v_add_f32_e32 v28, v24, v25
	v_pk_mul_f32 v[24:25], v[12:13], v[26:27]
	s_set_gpr_idx_on s30, gpr_idx(SRC0)
	v_mov_b32_e32 v26, v0
	s_set_gpr_idx_off
	s_sub_i32 s35, s6, s68
	s_add_i32 s34, s34, 8
	v_add_f32_e32 v24, v28, v24
	s_set_gpr_idx_on s27, gpr_idx(SRC0)
	v_mov_b32_e32 v27, v0
	s_set_gpr_idx_off
	s_add_i32 s35, s35, 9
	v_add_f32_e32 v28, v24, v25
	v_pk_mul_f32 v[24:25], v[18:19], v[26:27]
	s_set_gpr_idx_on s34, gpr_idx(SRC0)
	v_mov_b32_e32 v26, v0
	s_set_gpr_idx_off
	v_add_f32_e32 v24, v28, v24
	s_set_gpr_idx_on s35, gpr_idx(SRC0)
	v_mov_b32_e32 v27, v0
	s_set_gpr_idx_off
	v_add_f32_e32 v28, v24, v25
	v_pk_mul_f32 v[24:25], v[14:15], v[26:27]
	s_add_u32 s6, s6, 1
	v_add_f32_e32 v24, v28, v24
	v_add_f32_e32 v24, v24, v25
	;; [unrolled: 1-line block ×3, first 2 shown]
	v_mul_f32_e32 v25, 0xbfb8aa3b, v24
	v_fma_f32 v26, v24, s24, -v25
	v_rndne_f32_e32 v27, v25
	v_fmac_f32_e32 v26, 0xb2a5705f, v24
	v_sub_f32_e32 v25, v25, v27
	v_add_f32_e32 v25, v25, v26
	v_cvt_i32_f32_e32 v27, v27
	v_exp_f32_e32 v25, v25
	s_addc_u32 s7, s7, 0
	v_cmp_nlt_f32_e32 vcc, s25, v24
	s_add_u32 s8, s8, 1
	v_ldexp_f32 v25, v25, v27
	v_cndmask_b32_e32 v25, 0, v25, vcc
	v_cmp_ngt_f32_e32 vcc, s26, v24
	s_addc_u32 s9, s9, 0
	s_add_u32 s10, s10, 1
	v_cndmask_b32_e32 v25, v11, v25, vcc
	v_add_f32_e32 v25, 1.0, v25
	s_addc_u32 s11, s11, 0
	v_div_scale_f32 v26, s[28:29], v25, v25, v24
	s_add_u32 s12, s12, 1
	v_rcp_f32_e32 v27, v26
	s_addc_u32 s13, s13, 0
	s_add_u32 s14, s14, 1
	s_addc_u32 s15, s15, 0
	s_add_u32 s16, s16, 1
	v_fma_f32 v29, -v26, v27, 1.0
	s_addc_u32 s17, s17, 0
	v_div_scale_f32 v28, vcc, v24, v25, v24
	v_fmac_f32_e32 v27, v29, v27
	s_add_u32 s18, s18, 1
	v_mul_f32_e32 v29, v28, v27
	s_addc_u32 s19, s19, 0
	v_fma_f32 v30, -v26, v29, v28
	s_add_u32 s20, s20, 1
	v_fmac_f32_e32 v29, v30, v27
	s_addc_u32 s21, s21, 0
	v_fma_f32 v26, -v26, v29, v28
	s_add_u32 s22, s22, 1
	v_div_fmas_f32 v26, v26, v27, v29
	s_addc_u32 s23, s23, 0
	v_div_fixup_f32 v24, v26, v25, v24
	v_lshl_add_u64 v[20:21], v[20:21], 0, 4
	s_cmp_eq_u64 s[0:1], s[6:7]
	global_store_dword v[22:23], v24, off
	v_lshl_add_u64 v[22:23], v[22:23], 0, s[2:3]
	s_cbranch_scc0 .LBB6_5
.LBB6_6:
	s_endpgm
	.section	.rodata,"a",@progbits
	.p2align	6, 0x0
	.amdhsa_kernel _ZL12ssm_conv_f32ILb1ELm128ELm9EEvPKfS1_S1_iiiiPfiiil
		.amdhsa_group_segment_fixed_size 0
		.amdhsa_private_segment_fixed_size 0
		.amdhsa_kernarg_size 72
		.amdhsa_user_sgpr_count 2
		.amdhsa_user_sgpr_dispatch_ptr 0
		.amdhsa_user_sgpr_queue_ptr 0
		.amdhsa_user_sgpr_kernarg_segment_ptr 1
		.amdhsa_user_sgpr_dispatch_id 0
		.amdhsa_user_sgpr_kernarg_preload_length 0
		.amdhsa_user_sgpr_kernarg_preload_offset 0
		.amdhsa_user_sgpr_private_segment_size 0
		.amdhsa_uses_dynamic_stack 0
		.amdhsa_enable_private_segment 0
		.amdhsa_system_sgpr_workgroup_id_x 1
		.amdhsa_system_sgpr_workgroup_id_y 1
		.amdhsa_system_sgpr_workgroup_id_z 0
		.amdhsa_system_sgpr_workgroup_info 0
		.amdhsa_system_vgpr_workitem_id 0
		.amdhsa_next_free_vgpr 32
		.amdhsa_next_free_sgpr 82
		.amdhsa_accum_offset 32
		.amdhsa_reserve_vcc 1
		.amdhsa_float_round_mode_32 0
		.amdhsa_float_round_mode_16_64 0
		.amdhsa_float_denorm_mode_32 3
		.amdhsa_float_denorm_mode_16_64 3
		.amdhsa_dx10_clamp 1
		.amdhsa_ieee_mode 1
		.amdhsa_fp16_overflow 0
		.amdhsa_tg_split 0
		.amdhsa_exception_fp_ieee_invalid_op 0
		.amdhsa_exception_fp_denorm_src 0
		.amdhsa_exception_fp_ieee_div_zero 0
		.amdhsa_exception_fp_ieee_overflow 0
		.amdhsa_exception_fp_ieee_underflow 0
		.amdhsa_exception_fp_ieee_inexact 0
		.amdhsa_exception_int_div_zero 0
	.end_amdhsa_kernel
	.section	.text._ZL12ssm_conv_f32ILb1ELm128ELm9EEvPKfS1_S1_iiiiPfiiil,"axG",@progbits,_ZL12ssm_conv_f32ILb1ELm128ELm9EEvPKfS1_S1_iiiiPfiiil,comdat
.Lfunc_end6:
	.size	_ZL12ssm_conv_f32ILb1ELm128ELm9EEvPKfS1_S1_iiiiPfiiil, .Lfunc_end6-_ZL12ssm_conv_f32ILb1ELm128ELm9EEvPKfS1_S1_iiiiPfiiil
                                        ; -- End function
	.set _ZL12ssm_conv_f32ILb1ELm128ELm9EEvPKfS1_S1_iiiiPfiiil.num_vgpr, 32
	.set _ZL12ssm_conv_f32ILb1ELm128ELm9EEvPKfS1_S1_iiiiPfiiil.num_agpr, 0
	.set _ZL12ssm_conv_f32ILb1ELm128ELm9EEvPKfS1_S1_iiiiPfiiil.numbered_sgpr, 82
	.set _ZL12ssm_conv_f32ILb1ELm128ELm9EEvPKfS1_S1_iiiiPfiiil.num_named_barrier, 0
	.set _ZL12ssm_conv_f32ILb1ELm128ELm9EEvPKfS1_S1_iiiiPfiiil.private_seg_size, 0
	.set _ZL12ssm_conv_f32ILb1ELm128ELm9EEvPKfS1_S1_iiiiPfiiil.uses_vcc, 1
	.set _ZL12ssm_conv_f32ILb1ELm128ELm9EEvPKfS1_S1_iiiiPfiiil.uses_flat_scratch, 0
	.set _ZL12ssm_conv_f32ILb1ELm128ELm9EEvPKfS1_S1_iiiiPfiiil.has_dyn_sized_stack, 0
	.set _ZL12ssm_conv_f32ILb1ELm128ELm9EEvPKfS1_S1_iiiiPfiiil.has_recursion, 0
	.set _ZL12ssm_conv_f32ILb1ELm128ELm9EEvPKfS1_S1_iiiiPfiiil.has_indirect_call, 0
	.section	.AMDGPU.csdata,"",@progbits
; Kernel info:
; codeLenInByte = 2384
; TotalNumSgprs: 88
; NumVgprs: 32
; NumAgprs: 0
; TotalNumVgprs: 32
; ScratchSize: 0
; MemoryBound: 0
; FloatMode: 240
; IeeeMode: 1
; LDSByteSize: 0 bytes/workgroup (compile time only)
; SGPRBlocks: 10
; VGPRBlocks: 3
; NumSGPRsForWavesPerEU: 88
; NumVGPRsForWavesPerEU: 32
; AccumOffset: 32
; Occupancy: 8
; WaveLimiterHint : 0
; COMPUTE_PGM_RSRC2:SCRATCH_EN: 0
; COMPUTE_PGM_RSRC2:USER_SGPR: 2
; COMPUTE_PGM_RSRC2:TRAP_HANDLER: 0
; COMPUTE_PGM_RSRC2:TGID_X_EN: 1
; COMPUTE_PGM_RSRC2:TGID_Y_EN: 1
; COMPUTE_PGM_RSRC2:TGID_Z_EN: 0
; COMPUTE_PGM_RSRC2:TIDIG_COMP_CNT: 0
; COMPUTE_PGM_RSRC3_GFX90A:ACCUM_OFFSET: 7
; COMPUTE_PGM_RSRC3_GFX90A:TG_SPLIT: 0
	.section	.text._ZL23ssm_conv_long_token_f32ILb1ELm128ELm9ELl32EEvPKfS1_S1_iiiiPfiiil,"axG",@progbits,_ZL23ssm_conv_long_token_f32ILb1ELm128ELm9ELl32EEvPKfS1_S1_iiiiPfiiil,comdat
	.globl	_ZL23ssm_conv_long_token_f32ILb1ELm128ELm9ELl32EEvPKfS1_S1_iiiiPfiiil ; -- Begin function _ZL23ssm_conv_long_token_f32ILb1ELm128ELm9ELl32EEvPKfS1_S1_iiiiPfiiil
	.p2align	8
	.type	_ZL23ssm_conv_long_token_f32ILb1ELm128ELm9ELl32EEvPKfS1_S1_iiiiPfiiil,@function
_ZL23ssm_conv_long_token_f32ILb1ELm128ELm9ELl32EEvPKfS1_S1_iiiiPfiiil: ; @_ZL23ssm_conv_long_token_f32ILb1ELm128ELm9ELl32EEvPKfS1_S1_iiiiPfiiil
; %bb.0:
	s_load_dwordx4 s[8:11], s[0:1], 0x18
	s_load_dwordx2 s[12:13], s[0:1], 0x0
	s_mov_b32 s6, s3
	v_mul_u32_u24_e32 v1, 0x667, v0
	v_lshrrev_b32_e32 v1, 16, v1
	s_waitcnt lgkmcnt(0)
	s_mul_i32 s3, s10, s2
	s_ashr_i32 s5, s3, 31
	s_add_u32 s3, s12, s3
	s_addc_u32 s5, s13, s5
	s_ashr_i32 s7, s6, 31
	s_lshl_b64 s[12:13], s[6:7], 7
	s_ashr_i32 s10, s9, 31
	s_mul_i32 s10, s12, s10
	s_mul_hi_u32 s14, s12, s9
	s_lshr_b64 s[6:7], s[6:7], 25
	s_add_i32 s10, s14, s10
	s_mul_i32 s6, s6, s9
	s_add_i32 s10, s10, s6
	s_mul_i32 s6, s12, s9
	s_add_u32 s3, s3, s6
	s_addc_u32 s6, s5, s10
	s_ashr_i32 s5, s4, 31
	s_lshl_b64 s[14:15], s[4:5], 5
	s_ashr_i32 s7, s8, 31
	s_mul_i32 s7, s14, s7
	s_mul_hi_u32 s10, s14, s8
	s_lshr_b64 s[4:5], s[4:5], 27
	s_add_i32 s7, s10, s7
	s_mul_i32 s4, s4, s8
	s_add_i32 s7, s7, s4
	s_mul_i32 s4, s14, s8
	s_add_u32 s16, s3, s4
	v_mul_lo_u16_e32 v2, 40, v1
	s_addc_u32 s17, s6, s7
	s_ashr_i32 s3, s9, 2
	v_sub_u16_e32 v2, v0, v2
	v_mad_u64_u32 v[4:5], s[4:5], s3, v1, v[2:3]
	v_ashrrev_i32_e32 v5, 31, v4
	v_or_b32_e32 v3, 0x80, v2
	v_lshl_add_u64 v[6:7], v[4:5], 2, s[16:17]
	v_mul_lo_u16_e32 v4, 0xcd, v3
	v_lshrrev_b16_e32 v4, 13, v4
	v_add_u32_e32 v5, v1, v4
	v_mul_lo_u16_e32 v4, 40, v4
	v_sub_u16_e32 v3, v3, v4
	v_and_b32_e32 v4, 0xff, v3
	v_mad_u64_u32 v[8:9], s[4:5], v5, s3, v[4:5]
	v_ashrrev_i32_e32 v9, 31, v8
	v_lshl_add_u64 v[8:9], v[8:9], 2, s[16:17]
	global_load_dword v3, v[6:7], off
	global_load_dword v11, v[8:9], off
	v_or_b32_e32 v6, 0x80, v4
	v_mul_lo_u16_e32 v7, 0xcd, v6
	v_lshrrev_b16_e32 v7, 13, v7
	v_add_u32_e32 v15, v5, v7
	v_mul_lo_u16_e32 v7, 40, v7
	v_sub_u16_e32 v6, v6, v7
	v_and_b32_e32 v6, 0xff, v6
	v_mad_u64_u32 v[8:9], s[4:5], v15, s3, v[6:7]
	v_or_b32_e32 v7, 0x80, v6
	v_mul_lo_u16_e32 v10, 0xcd, v7
	v_lshrrev_b16_e32 v10, 13, v10
	v_add_u32_e32 v19, v15, v10
	v_mul_lo_u16_e32 v10, 40, v10
	v_sub_u16_e32 v7, v7, v10
	v_and_b32_e32 v10, 0xff, v7
	v_or_b32_e32 v7, 0x80, v10
	v_mul_lo_u16_e32 v14, 0xcd, v7
	v_lshrrev_b16_e32 v14, 13, v14
	v_add_u32_e32 v20, v19, v14
	v_mul_lo_u16_e32 v14, 40, v14
	v_sub_u16_e32 v7, v7, v14
	v_and_b32_e32 v14, 0xff, v7
	v_ashrrev_i32_e32 v9, 31, v8
	v_mad_u64_u32 v[16:17], s[4:5], v20, s3, v[14:15]
	v_lshl_add_u64 v[8:9], v[8:9], 2, s[16:17]
	v_ashrrev_i32_e32 v17, 31, v16
	v_lshl_add_u64 v[16:17], v[16:17], 2, s[16:17]
	v_mul_u32_u24_e32 v1, 0xa0, v1
	v_lshlrev_b32_e32 v2, 2, v2
	v_add3_u32 v1, 0, v1, v2
	v_lshlrev_b32_e32 v2, 2, v4
	s_movk_i32 s6, 0xa0
	s_movk_i32 s7, 0x80
	s_waitcnt vmcnt(0)
	v_mad_u64_u32 v[12:13], s[4:5], v19, s3, v[10:11]
	v_ashrrev_i32_e32 v13, 31, v12
	v_lshl_add_u64 v[12:13], v[12:13], 2, s[16:17]
	global_load_dword v7, v[8:9], off
	global_load_dword v21, v[12:13], off
	;; [unrolled: 1-line block ×3, first 2 shown]
	v_or_b32_e32 v8, 0x80, v14
	v_mul_lo_u16_e32 v9, 0xcd, v8
	v_lshrrev_b16_e32 v9, 13, v9
	v_add_u32_e32 v17, v20, v9
	v_mul_lo_u16_e32 v9, 40, v9
	v_sub_u16_e32 v8, v8, v9
	v_and_b32_e32 v8, 0xff, v8
	v_mad_u64_u32 v[12:13], s[4:5], v17, s3, v[8:9]
	v_ashrrev_i32_e32 v13, 31, v12
	v_lshl_add_u64 v[12:13], v[12:13], 2, s[16:17]
	global_load_dword v9, v[12:13], off
	v_or_b32_e32 v12, 0x80, v8
	v_mul_lo_u16_e32 v13, 0xcd, v12
	v_lshrrev_b16_e32 v13, 13, v13
	v_add_u32_e32 v23, v17, v13
	v_mul_lo_u16_e32 v13, 40, v13
	v_sub_u16_e32 v12, v12, v13
	v_and_b32_e32 v16, 0xff, v12
	v_mad_u64_u32 v[12:13], s[4:5], v23, s3, v[16:17]
	v_ashrrev_i32_e32 v13, 31, v12
	v_lshl_add_u64 v[12:13], v[12:13], 2, s[16:17]
	global_load_dword v24, v[12:13], off
	;; [unrolled: 11-line block ×3, first 2 shown]
	ds_write_b32 v1, v3
	v_mul_u32_u24_e32 v1, 0xa0, v5
	v_add3_u32 v1, 0, v1, v2
	ds_write_b32 v1, v11
	v_mul_u32_u24_e32 v1, 0xa0, v15
	v_lshlrev_b32_e32 v2, 2, v6
	v_add3_u32 v1, 0, v1, v2
	v_lshlrev_b32_e32 v2, 2, v10
	s_waitcnt vmcnt(5)
	ds_write_b32 v1, v7
	v_mul_u32_u24_e32 v1, 0xa0, v19
	v_add3_u32 v1, 0, v1, v2
	s_waitcnt vmcnt(4)
	ds_write_b32 v1, v21
	v_mul_u32_u24_e32 v1, 0xa0, v20
	v_lshlrev_b32_e32 v2, 2, v14
	v_add3_u32 v1, 0, v1, v2
	s_waitcnt vmcnt(3)
	ds_write_b32 v1, v22
	v_mul_u32_u24_e32 v1, 0xa0, v17
	v_lshlrev_b32_e32 v2, 2, v8
	v_add3_u32 v1, 0, v1, v2
	s_waitcnt vmcnt(2)
	ds_write_b32 v1, v9
	v_or_b32_e32 v1, 0x80, v18
	v_mul_lo_u16_e32 v2, 0xcd, v1
	v_lshrrev_b16_e32 v2, 13, v2
	v_add_u32_e32 v3, v25, v2
	v_mul_lo_u16_e32 v2, 40, v2
	v_sub_u16_e32 v1, v1, v2
	v_and_b32_e32 v2, 0xff, v1
	v_or_b32_e32 v1, 0x80, v2
	v_mul_lo_u16_e32 v6, 0xcd, v1
	v_lshrrev_b16_e32 v6, 13, v6
	v_add_u32_e32 v15, v3, v6
	v_mul_lo_u16_e32 v6, 40, v6
	v_sub_u16_e32 v1, v1, v6
	v_mad_u64_u32 v[4:5], s[4:5], v3, s3, v[2:3]
	v_and_b32_e32 v12, 0xff, v1
	v_ashrrev_i32_e32 v5, 31, v4
	v_lshl_add_u64 v[4:5], v[4:5], 2, s[16:17]
	v_or_b32_e32 v1, 0x80, v12
	v_lshlrev_b32_e32 v2, 2, v2
	s_waitcnt vmcnt(0)
	v_mad_u64_u32 v[6:7], s[4:5], v15, s3, v[12:13]
	v_ashrrev_i32_e32 v7, 31, v6
	v_lshl_add_u64 v[6:7], v[6:7], 2, s[16:17]
	global_load_dword v26, v[4:5], off
	global_load_dword v27, v[6:7], off
	v_mul_lo_u16_e32 v4, 0xcd, v1
	v_lshrrev_b16_e32 v4, 13, v4
	v_add_u32_e32 v28, v15, v4
	v_mul_lo_u16_e32 v4, 40, v4
	v_sub_u16_e32 v1, v1, v4
	v_and_b32_e32 v14, 0xff, v1
	v_mad_u64_u32 v[4:5], s[4:5], v28, s3, v[14:15]
	v_ashrrev_i32_e32 v5, 31, v4
	v_lshl_add_u64 v[4:5], v[4:5], 2, s[16:17]
	global_load_dword v29, v[4:5], off
	v_mul_lo_u32 v1, v23, s6
	v_lshlrev_b32_e32 v4, 2, v16
	v_add3_u32 v1, 0, v1, v4
	ds_write_b32 v1, v24
	v_mul_lo_u32 v1, v25, s6
	v_lshlrev_b32_e32 v4, 2, v18
	v_add3_u32 v1, 0, v1, v4
	ds_write_b32 v1, v13
	v_mul_lo_u32 v1, v3, s6
	v_add3_u32 v13, 0, v1, v2
	v_or_b32_e32 v2, 0x80, v14
	v_mul_lo_u16_e32 v1, 0xcd, v2
	v_lshrrev_b16_e32 v3, 13, v1
	v_add_u32_e32 v1, v28, v3
	v_mul_lo_u16_e32 v3, 40, v3
	v_sub_u16_e32 v2, v2, v3
	v_and_b32_e32 v2, 0xff, v2
	v_mad_u64_u32 v[4:5], s[4:5], v1, s3, v[2:3]
	v_ashrrev_i32_e32 v5, 31, v4
	v_lshl_add_u64 v[16:17], v[4:5], 2, s[16:17]
	v_or_b32_e32 v4, 0x80, v2
	v_mul_lo_u16_e32 v3, 0xcd, v4
	v_lshrrev_b16_e32 v5, 13, v3
	v_add_u32_e32 v3, v1, v5
	v_mul_lo_u16_e32 v5, 40, v5
	v_sub_u16_e32 v4, v4, v5
	v_and_b32_e32 v4, 0xff, v4
	v_mad_u64_u32 v[6:7], s[4:5], v3, s3, v[4:5]
	v_ashrrev_i32_e32 v7, 31, v6
	v_lshl_add_u64 v[18:19], v[6:7], 2, s[16:17]
	v_or_b32_e32 v6, 0x80, v4
	v_mul_lo_u16_e32 v5, 0xcd, v6
	v_lshrrev_b16_e32 v7, 13, v5
	v_add_u32_e32 v5, v3, v7
	v_mul_lo_u16_e32 v7, 40, v7
	v_sub_u16_e32 v6, v6, v7
	v_and_b32_e32 v6, 0xff, v6
	v_mad_u64_u32 v[8:9], s[4:5], v5, s3, v[6:7]
	v_ashrrev_i32_e32 v9, 31, v8
	v_or_b32_e32 v7, 0x80, v6
	v_lshl_add_u64 v[20:21], v[8:9], 2, s[16:17]
	v_mul_lo_u16_e32 v8, 0xcd, v7
	v_lshrrev_b16_e32 v8, 13, v8
	v_add_u32_e32 v9, v5, v8
	v_mul_lo_u16_e32 v8, 40, v8
	v_sub_u16_e32 v7, v7, v8
	v_and_b32_e32 v8, 0xff, v7
	v_mad_u64_u32 v[10:11], s[4:5], v9, s3, v[8:9]
	v_ashrrev_i32_e32 v11, 31, v10
	v_or_b32_e32 v7, 0x80, v8
	v_lshl_add_u64 v[22:23], v[10:11], 2, s[16:17]
	v_mul_lo_u16_e32 v10, 0xcd, v7
	v_lshrrev_b16_e32 v10, 13, v10
	v_add_u32_e32 v11, v9, v10
	v_mul_lo_u16_e32 v10, 40, v10
	v_sub_u16_e32 v7, v7, v10
	v_and_b32_e32 v10, 0xff, v7
	v_mad_u64_u32 v[24:25], s[4:5], v11, s3, v[10:11]
	v_ashrrev_i32_e32 v25, 31, v24
	v_lshl_add_u64 v[24:25], v[24:25], 2, s[16:17]
	global_load_dword v7, v[16:17], off
	global_load_dword v33, v[18:19], off
	;; [unrolled: 1-line block ×5, first 2 shown]
	v_lshlrev_b32_e32 v12, 2, v12
	s_waitcnt vmcnt(7)
	ds_write_b32 v13, v26
	v_mul_lo_u32 v13, v15, s6
	v_add3_u32 v12, 0, v13, v12
	s_waitcnt vmcnt(6)
	ds_write_b32 v12, v27
	v_mul_lo_u32 v12, v28, s6
	v_lshlrev_b32_e32 v13, 2, v14
	v_add3_u32 v12, 0, v12, v13
	v_lshlrev_b32_e32 v2, 2, v2
	v_mul_lo_u32 v1, v1, s6
	v_add3_u32 v1, 0, v1, v2
	v_lshlrev_b32_e32 v2, 2, v4
	s_waitcnt vmcnt(5)
	ds_write_b32 v12, v29
	v_or_b32_e32 v12, 0x80, v10
	v_mul_lo_u16_e32 v13, 0xcd, v12
	v_lshrrev_b16_e32 v13, 13, v13
	v_add_u32_e32 v42, v11, v13
	v_mul_lo_u16_e32 v13, 40, v13
	v_sub_u16_e32 v12, v12, v13
	v_and_b32_e32 v12, 0xff, v12
	v_mad_u64_u32 v[14:15], s[4:5], v42, s3, v[12:13]
	v_ashrrev_i32_e32 v15, 31, v14
	v_or_b32_e32 v13, 0x80, v12
	v_lshl_add_u64 v[16:17], v[14:15], 2, s[16:17]
	v_mul_lo_u16_e32 v14, 0xcd, v13
	v_lshrrev_b16_e32 v14, 13, v14
	v_add_u32_e32 v15, v42, v14
	v_mul_lo_u16_e32 v14, 40, v14
	v_sub_u16_e32 v13, v13, v14
	v_and_b32_e32 v14, 0xff, v13
	v_mad_u64_u32 v[18:19], s[4:5], v15, s3, v[14:15]
	v_ashrrev_i32_e32 v19, 31, v18
	v_lshl_add_u64 v[18:19], v[18:19], 2, s[16:17]
	global_load_dword v13, v[16:17], off
	global_load_dword v43, v[18:19], off
	v_or_b32_e32 v16, 0x80, v14
	v_mul_lo_u16_e32 v17, 0xcd, v16
	v_lshrrev_b16_e32 v17, 13, v17
	v_add_u32_e32 v44, v15, v17
	v_mul_lo_u16_e32 v17, 40, v17
	v_sub_u16_e32 v16, v16, v17
	v_and_b32_e32 v16, 0xff, v16
	v_mad_u64_u32 v[18:19], s[4:5], v44, s3, v[16:17]
	v_ashrrev_i32_e32 v19, 31, v18
	v_or_b32_e32 v17, 0x80, v16
	v_lshl_add_u64 v[24:25], v[18:19], 2, s[16:17]
	v_mul_lo_u16_e32 v18, 0xcd, v17
	v_lshrrev_b16_e32 v18, 13, v18
	v_add_u32_e32 v19, v44, v18
	v_mul_lo_u16_e32 v18, 40, v18
	v_sub_u16_e32 v17, v17, v18
	v_and_b32_e32 v18, 0xff, v17
	v_mad_u64_u32 v[20:21], s[4:5], v19, s3, v[18:19]
	v_ashrrev_i32_e32 v21, 31, v20
	v_or_b32_e32 v17, 0x80, v18
	v_lshl_add_u64 v[26:27], v[20:21], 2, s[16:17]
	;; [unrolled: 10-line block ×3, first 2 shown]
	v_mul_lo_u16_e32 v22, 0xcd, v17
	v_lshrrev_b16_e32 v22, 13, v22
	v_add_u32_e32 v23, v21, v22
	v_mul_lo_u16_e32 v22, 40, v22
	v_sub_u16_e32 v17, v17, v22
	v_and_b32_e32 v22, 0xff, v17
	v_or_b32_e32 v17, 0x80, v22
	v_mul_lo_u16_e32 v32, 0xcd, v17
	v_lshrrev_b16_e32 v32, 13, v32
	v_add_u32_e32 v45, v23, v32
	v_mul_lo_u16_e32 v32, 40, v32
	v_sub_u16_e32 v17, v17, v32
	v_and_b32_e32 v32, 0xff, v17
	v_or_b32_e32 v17, 0x80, v32
	v_mul_lo_u16_e32 v36, 0xcd, v17
	v_lshrrev_b16_e32 v36, 13, v36
	v_add_u32_e32 v46, v45, v36
	v_mul_lo_u16_e32 v36, 40, v36
	v_sub_u16_e32 v17, v17, v36
	v_and_b32_e32 v36, 0xff, v17
	v_mad_u64_u32 v[30:31], s[4:5], v23, s3, v[22:23]
	s_waitcnt vmcnt(5)
	v_mad_u64_u32 v[34:35], s[4:5], v45, s3, v[32:33]
	s_waitcnt vmcnt(4)
	v_mad_u64_u32 v[38:39], s[4:5], v46, s3, v[36:37]
	v_ashrrev_i32_e32 v31, 31, v30
	v_ashrrev_i32_e32 v35, 31, v34
	v_ashrrev_i32_e32 v39, 31, v38
	v_lshl_add_u64 v[30:31], v[30:31], 2, s[16:17]
	v_lshl_add_u64 v[34:35], v[34:35], 2, s[16:17]
	;; [unrolled: 1-line block ×3, first 2 shown]
	global_load_dword v17, v[24:25], off
	global_load_dword v47, v[26:27], off
	;; [unrolled: 1-line block ×6, first 2 shown]
	v_or_b32_e32 v24, 0x80, v36
	v_mul_lo_u16_e32 v25, 0xcd, v24
	v_lshrrev_b16_e32 v25, 13, v25
	v_add_u32_e32 v30, v46, v25
	v_mul_lo_u16_e32 v25, 40, v25
	v_sub_u16_e32 v24, v24, v25
	v_and_b32_e32 v24, 0xff, v24
	v_mad_u64_u32 v[26:27], s[4:5], v30, s3, v[24:25]
	v_ashrrev_i32_e32 v27, 31, v26
	v_lshl_add_u64 v[26:27], v[26:27], 2, s[16:17]
	global_load_dword v25, v[26:27], off
	v_or_b32_e32 v26, 0x80, v24
	v_mul_lo_u16_e32 v27, 0xcd, v26
	v_lshrrev_b16_e32 v27, 13, v27
	v_add_u32_e32 v31, v30, v27
	v_mul_lo_u16_e32 v27, 40, v27
	v_sub_u16_e32 v26, v26, v27
	v_and_b32_e32 v26, 0xff, v26
	v_mad_u64_u32 v[28:29], s[4:5], v31, s3, v[26:27]
	v_ashrrev_i32_e32 v29, 31, v28
	v_lshl_add_u64 v[28:29], v[28:29], 2, s[16:17]
	global_load_dword v27, v[28:29], off
	ds_write_b32 v1, v7
	v_mul_lo_u32 v1, v3, s6
	v_add3_u32 v1, 0, v1, v2
	ds_write_b32 v1, v33
	v_mul_lo_u32 v1, v5, s6
	v_lshlrev_b32_e32 v2, 2, v6
	v_add3_u32 v1, 0, v1, v2
	ds_write_b32 v1, v37
	v_mul_lo_u32 v1, v9, s6
	v_lshlrev_b32_e32 v2, 2, v8
	v_add3_u32 v1, 0, v1, v2
	s_waitcnt vmcnt(11)
	ds_write_b32 v1, v40
	v_mul_lo_u32 v1, v11, s6
	v_lshlrev_b32_e32 v2, 2, v10
	v_add3_u32 v1, 0, v1, v2
	s_waitcnt vmcnt(10)
	;; [unrolled: 5-line block ×4, first 2 shown]
	ds_write_b32 v1, v43
	v_mul_lo_u32 v1, v44, s6
	v_lshlrev_b32_e32 v2, 2, v16
	v_add3_u32 v1, 0, v1, v2
	v_lshlrev_b32_e32 v2, 2, v18
	s_waitcnt vmcnt(7)
	ds_write_b32 v1, v17
	v_mul_lo_u32 v1, v19, s6
	v_add3_u32 v1, 0, v1, v2
	s_waitcnt vmcnt(6)
	ds_write_b32 v1, v47
	v_mul_lo_u32 v1, v21, s6
	v_lshlrev_b32_e32 v2, 2, v20
	v_add3_u32 v1, 0, v1, v2
	s_waitcnt vmcnt(5)
	ds_write_b32 v1, v48
	v_mul_lo_u32 v1, v23, s6
	v_lshlrev_b32_e32 v2, 2, v22
	;; [unrolled: 5-line block ×6, first 2 shown]
	v_add3_u32 v1, 0, v1, v2
	v_or_b32_e32 v2, 0x80, v26
	s_waitcnt vmcnt(0)
	ds_write_b32 v1, v27
	v_mul_lo_u16_e32 v1, 0xcd, v2
	v_lshrrev_b16_e32 v3, 13, v1
	v_add_u32_e32 v1, v31, v3
	v_mul_lo_u16_e32 v3, 40, v3
	v_sub_u16_e32 v2, v2, v3
	v_and_b32_e32 v2, 0xff, v2
	v_cmp_gt_u32_e32 vcc, s7, v1
	s_and_saveexec_b64 s[4:5], vcc
	s_cbranch_execz .LBB7_2
; %bb.1:
	v_mad_u64_u32 v[4:5], s[8:9], v1, s3, v[2:3]
	v_ashrrev_i32_e32 v5, 31, v4
	v_lshl_add_u64 v[4:5], v[4:5], 2, s[16:17]
	global_load_dword v3, v[4:5], off
	v_mul_lo_u32 v4, v1, s6
	v_lshlrev_b32_e32 v5, 2, v2
	v_add3_u32 v4, 0, v4, v5
	s_waitcnt vmcnt(0)
	ds_write_b32 v4, v3
.LBB7_2:
	s_or_b64 exec, exec, s[4:5]
	v_or_b32_e32 v2, 0x80, v2
	v_mul_lo_u16_e32 v3, 0xcd, v2
	v_lshrrev_b16_e32 v3, 13, v3
	v_add_u32_e32 v1, v1, v3
	v_mul_lo_u16_e32 v3, 40, v3
	v_sub_u16_e32 v2, v2, v3
	v_and_b32_e32 v2, 0xff, v2
	v_cmp_gt_u32_e32 vcc, s7, v1
	s_and_saveexec_b64 s[4:5], vcc
	s_cbranch_execz .LBB7_4
; %bb.3:
	v_mad_u64_u32 v[4:5], s[6:7], v1, s3, v[2:3]
	v_ashrrev_i32_e32 v5, 31, v4
	v_lshl_add_u64 v[4:5], v[4:5], 2, s[16:17]
	global_load_dword v3, v[4:5], off
	s_movk_i32 s6, 0xa0
	v_mul_lo_u32 v4, v1, s6
	v_lshlrev_b32_e32 v5, 2, v2
	v_add3_u32 v4, 0, v4, v5
	s_waitcnt vmcnt(0)
	ds_write_b32 v4, v3
.LBB7_4:
	s_or_b64 exec, exec, s[4:5]
	v_or_b32_e32 v2, 0x80, v2
	v_mul_lo_u16_e32 v3, 0xcd, v2
	v_lshrrev_b16_e32 v3, 13, v3
	v_add_u32_e32 v1, v1, v3
	v_mul_lo_u16_e32 v3, 40, v3
	s_movk_i32 s6, 0x80
	v_sub_u16_e32 v2, v2, v3
	v_and_b32_e32 v2, 0xff, v2
	v_cmp_gt_u32_e32 vcc, s6, v1
	s_and_saveexec_b64 s[4:5], vcc
	s_cbranch_execz .LBB7_6
; %bb.5:
	v_mad_u64_u32 v[4:5], s[8:9], v1, s3, v[2:3]
	v_ashrrev_i32_e32 v5, 31, v4
	v_lshl_add_u64 v[4:5], v[4:5], 2, s[16:17]
	global_load_dword v3, v[4:5], off
	s_movk_i32 s7, 0xa0
	v_mul_lo_u32 v4, v1, s7
	v_lshlrev_b32_e32 v5, 2, v2
	v_add3_u32 v4, 0, v4, v5
	s_waitcnt vmcnt(0)
	ds_write_b32 v4, v3
.LBB7_6:
	s_or_b64 exec, exec, s[4:5]
	v_or_b32_e32 v2, 0x80, v2
	v_mul_lo_u16_e32 v3, 0xcd, v2
	v_lshrrev_b16_e32 v3, 13, v3
	v_add_u32_e32 v1, v1, v3
	v_mul_lo_u16_e32 v3, 40, v3
	v_sub_u16_e32 v2, v2, v3
	v_and_b32_e32 v2, 0xff, v2
	v_cmp_gt_u32_e32 vcc, s6, v1
	s_and_saveexec_b64 s[4:5], vcc
	s_cbranch_execz .LBB7_8
; %bb.7:
	v_mad_u64_u32 v[4:5], s[6:7], v1, s3, v[2:3]
	v_ashrrev_i32_e32 v5, 31, v4
	v_lshl_add_u64 v[4:5], v[4:5], 2, s[16:17]
	global_load_dword v3, v[4:5], off
	s_movk_i32 s6, 0xa0
	v_mul_lo_u32 v4, v1, s6
	v_lshlrev_b32_e32 v5, 2, v2
	v_add3_u32 v4, 0, v4, v5
	s_waitcnt vmcnt(0)
	ds_write_b32 v4, v3
.LBB7_8:
	s_or_b64 exec, exec, s[4:5]
	v_or_b32_e32 v2, 0x80, v2
	v_mul_lo_u16_e32 v3, 0xcd, v2
	v_lshrrev_b16_e32 v3, 13, v3
	v_add_u32_e32 v1, v1, v3
	v_mul_lo_u16_e32 v3, 40, v3
	s_movk_i32 s6, 0x80
	v_sub_u16_e32 v2, v2, v3
	v_and_b32_e32 v2, 0xff, v2
	v_cmp_gt_u32_e32 vcc, s6, v1
	s_and_saveexec_b64 s[4:5], vcc
	s_cbranch_execz .LBB7_10
; %bb.9:
	v_mad_u64_u32 v[4:5], s[8:9], v1, s3, v[2:3]
	v_ashrrev_i32_e32 v5, 31, v4
	v_lshl_add_u64 v[4:5], v[4:5], 2, s[16:17]
	global_load_dword v3, v[4:5], off
	s_movk_i32 s7, 0xa0
	v_mul_lo_u32 v4, v1, s7
	v_lshlrev_b32_e32 v5, 2, v2
	v_add3_u32 v4, 0, v4, v5
	s_waitcnt vmcnt(0)
	ds_write_b32 v4, v3
.LBB7_10:
	;; [unrolled: 47-line block ×3, first 2 shown]
	s_or_b64 exec, exec, s[4:5]
	s_load_dwordx4 s[4:7], s[0:1], 0x8
	s_load_dwordx2 s[8:9], s[0:1], 0x28
	s_movk_i32 s10, 0x380
	v_cmp_gt_u32_e32 vcc, s10, v0
	s_and_saveexec_b64 s[18:19], vcc
	s_cbranch_execz .LBB7_35
; %bb.15:
	v_or_b32_e32 v2, 0x80, v2
	v_mul_lo_u16_e32 v3, 0xcd, v2
	v_lshrrev_b16_e32 v3, 13, v3
	v_add_u32_e32 v1, v1, v3
	v_mul_lo_u16_e32 v3, 40, v3
	s_movk_i32 s10, 0x80
	v_sub_u16_e32 v2, v2, v3
	v_and_b32_e32 v2, 0xff, v2
	v_cmp_gt_u32_e32 vcc, s10, v1
	s_and_saveexec_b64 s[20:21], vcc
	s_cbranch_execz .LBB7_17
; %bb.16:
	v_mad_u64_u32 v[4:5], s[22:23], v1, s3, v[2:3]
	v_ashrrev_i32_e32 v5, 31, v4
	v_lshl_add_u64 v[4:5], v[4:5], 2, s[16:17]
	global_load_dword v3, v[4:5], off
	s_movk_i32 s10, 0xa0
	v_mul_lo_u32 v4, v1, s10
	v_lshlrev_b32_e32 v5, 2, v2
	v_add3_u32 v4, 0, v4, v5
	s_waitcnt vmcnt(0)
	ds_write_b32 v4, v3
.LBB7_17:
	s_or_b64 exec, exec, s[20:21]
	s_movk_i32 s10, 0x300
	v_cmp_gt_u32_e32 vcc, s10, v0
	s_and_b64 exec, exec, vcc
	s_cbranch_execz .LBB7_35
; %bb.18:
	v_or_b32_e32 v2, 0x80, v2
	v_mul_lo_u16_e32 v3, 0xcd, v2
	v_lshrrev_b16_e32 v3, 13, v3
	v_add_u32_e32 v1, v1, v3
	v_mul_lo_u16_e32 v3, 40, v3
	s_movk_i32 s10, 0x80
	v_sub_u16_e32 v2, v2, v3
	v_and_b32_e32 v2, 0xff, v2
	v_cmp_gt_u32_e32 vcc, s10, v1
	s_and_saveexec_b64 s[20:21], vcc
	s_cbranch_execz .LBB7_20
; %bb.19:
	v_mad_u64_u32 v[4:5], s[22:23], v1, s3, v[2:3]
	v_ashrrev_i32_e32 v5, 31, v4
	v_lshl_add_u64 v[4:5], v[4:5], 2, s[16:17]
	global_load_dword v3, v[4:5], off
	s_movk_i32 s10, 0xa0
	v_mul_lo_u32 v4, v1, s10
	v_lshlrev_b32_e32 v5, 2, v2
	v_add3_u32 v4, 0, v4, v5
	s_waitcnt vmcnt(0)
	ds_write_b32 v4, v3
.LBB7_20:
	s_or_b64 exec, exec, s[20:21]
	s_movk_i32 s10, 0x280
	v_cmp_gt_u32_e32 vcc, s10, v0
	s_and_b64 exec, exec, vcc
	;; [unrolled: 29-line block ×5, first 2 shown]
	s_cbranch_execz .LBB7_35
; %bb.30:
	v_or_b32_e32 v2, 0x80, v2
	v_mul_lo_u16_e32 v3, 0xcd, v2
	v_lshrrev_b16_e32 v3, 13, v3
	v_add_u32_e32 v1, v1, v3
	v_mul_lo_u16_e32 v3, 40, v3
	s_movk_i32 s10, 0x80
	v_sub_u16_e32 v2, v2, v3
	v_and_b32_e32 v2, 0xff, v2
	v_cmp_gt_u32_e32 vcc, s10, v1
	s_and_saveexec_b64 s[20:21], vcc
	s_cbranch_execz .LBB7_32
; %bb.31:
	v_mad_u64_u32 v[4:5], s[22:23], v1, s3, v[2:3]
	v_ashrrev_i32_e32 v5, 31, v4
	v_lshl_add_u64 v[4:5], v[4:5], 2, s[16:17]
	global_load_dword v3, v[4:5], off
	s_movk_i32 s22, 0xa0
	v_mul_lo_u32 v4, v1, s22
	v_lshlrev_b32_e32 v5, 2, v2
	v_add3_u32 v4, 0, v4, v5
	s_waitcnt vmcnt(0)
	ds_write_b32 v4, v3
.LBB7_32:
	s_or_b64 exec, exec, s[20:21]
	v_cmp_gt_u32_e32 vcc, s10, v0
	s_and_b64 exec, exec, vcc
	s_cbranch_execz .LBB7_35
; %bb.33:
	v_or_b32_e32 v2, 0x80, v2
	v_mul_lo_u16_e32 v3, 0xcd, v2
	v_lshrrev_b16_e32 v3, 13, v3
	v_add_u32_e32 v1, v1, v3
	v_cmp_gt_u32_e32 vcc, s10, v1
	s_and_b64 exec, exec, vcc
	s_cbranch_execz .LBB7_35
; %bb.34:
	v_mul_lo_u16_e32 v3, 40, v3
	v_sub_u16_e32 v2, v2, v3
	v_and_b32_e32 v2, 0xff, v2
	v_mad_u64_u32 v[4:5], s[20:21], v1, s3, v[2:3]
	v_ashrrev_i32_e32 v5, 31, v4
	v_lshl_add_u64 v[4:5], v[4:5], 2, s[16:17]
	global_load_dword v3, v[4:5], off
	s_movk_i32 s3, 0xa0
	v_mul_lo_u32 v1, v1, s3
	v_lshlrev_b32_e32 v2, 2, v2
	v_add3_u32 v1, 0, v1, v2
	s_waitcnt vmcnt(0)
	ds_write_b32 v1, v3
.LBB7_35:
	s_or_b64 exec, exec, s[18:19]
	s_ashr_i32 s3, s11, 31
	s_mul_hi_u32 s10, s12, s11
	s_mul_i32 s3, s12, s3
	s_add_i32 s3, s10, s3
	s_mul_i32 s10, s13, s11
	s_add_i32 s3, s3, s10
	s_mul_i32 s10, s12, s11
	s_waitcnt lgkmcnt(0)
	s_add_u32 s4, s4, s10
	s_addc_u32 s5, s5, s3
	s_ashr_i32 s3, s11, 2
	v_mul_lo_u32 v2, s3, v0
	v_ashrrev_i32_e32 v3, 31, v2
	v_lshl_add_u64 v[12:13], v[2:3], 2, s[4:5]
	s_barrier
	global_load_dword v11, v[12:13], off offset:32
	global_load_dwordx4 v[6:9], v[12:13], off offset:16
	global_load_dwordx4 v[2:5], v[12:13], off
	s_cmp_eq_u64 s[6:7], 0
	v_lshlrev_b32_e32 v20, 2, v0
	s_cbranch_scc1 .LBB7_37
; %bb.36:
	s_lshl_b64 s[4:5], s[12:13], 2
	s_add_u32 s4, s6, s4
	s_addc_u32 s5, s7, s5
	global_load_dword v12, v20, s[4:5]
	s_branch .LBB7_38
.LBB7_37:
	v_mov_b32_e32 v12, 0
.LBB7_38:
	s_load_dwordx2 s[4:5], s[0:1], 0x40
	s_waitcnt lgkmcnt(0)
	s_sub_u32 s10, s4, s14
	s_subb_u32 s11, s5, s15
	v_cmp_lt_i64_e64 s[4:5], s[10:11], 1
	s_and_b64 vcc, exec, s[4:5]
	s_cbranch_vccnz .LBB7_46
; %bb.39:
	s_load_dwordx4 s[4:7], s[0:1], 0x30
	s_waitcnt vmcnt(0)
	v_mov_b32_e32 v14, v3
	v_mov_b32_e32 v15, v4
	;; [unrolled: 1-line block ×4, first 2 shown]
	s_waitcnt lgkmcnt(0)
	s_ashr_i32 s0, s5, 31
	s_mul_hi_u32 s1, s14, s5
	s_mul_i32 s0, s14, s0
	s_add_i32 s0, s1, s0
	s_mul_i32 s1, s15, s5
	s_add_i32 s15, s0, s1
	s_ashr_i32 s0, s4, 31
	s_mul_hi_u32 s1, s12, s4
	s_mul_i32 s0, s12, s0
	s_mul_i32 s16, s6, s2
	s_add_i32 s0, s1, s0
	s_mul_i32 s1, s13, s4
	s_ashr_i32 s17, s16, 31
	s_add_i32 s13, s0, s1
	s_ashr_i32 s2, s5, 2
	v_cmp_lt_u64_e64 s[0:1], s[10:11], 32
	s_and_b64 s[0:1], s[0:1], exec
	s_cselect_b32 s7, s11, 0
	s_cselect_b32 s6, s10, 32
	s_cmp_eq_u64 s[10:11], 1
	s_cselect_b64 s[0:1], -1, 0
	s_cmp_lg_u32 s2, 1
	s_cselect_b64 s[10:11], -1, 0
	s_or_b64 s[0:1], s[0:1], s[10:11]
	v_mov_b32_e32 v18, v7
	v_mov_b32_e32 v19, v8
	;; [unrolled: 1-line block ×3, first 2 shown]
	s_mul_i32 s14, s14, s5
	s_mul_i32 s12, s12, s4
	v_mul_u32_u24_e32 v36, 0xa0, v0
	v_mov_b32_e32 v21, 0
	s_mov_b32 s5, 0
	s_and_b64 vcc, exec, s[0:1]
	s_cbranch_vccnz .LBB7_43
; %bb.40:
	s_add_u32 s0, s8, s16
	s_addc_u32 s1, s9, s17
	v_add_u32_e32 v37, 0, v36
	s_add_u32 s0, s0, s14
	ds_read2_b32 v[34:35], v37 offset1:1
	s_addc_u32 s1, s1, s15
	s_add_u32 s0, s0, s12
	s_addc_u32 s1, s1, s13
	s_and_b32 s4, s6, 62
	v_lshl_add_u64 v[0:1], s[0:1], 0, v[20:21]
	v_mov_b32_e32 v22, v2
	v_mov_b32_e32 v23, v2
	;; [unrolled: 1-line block ×16, first 2 shown]
	s_mov_b32 s3, 0xbfb8aa3b
	s_mov_b32 s18, 0x42ce8ed0
	;; [unrolled: 1-line block ×3, first 2 shown]
	v_mov_b32_e32 v3, 0x7f800000
	s_mov_b64 s[10:11], s[4:5]
.LBB7_41:                               ; =>This Inner Loop Header: Depth=1
	s_waitcnt lgkmcnt(0)
	v_pk_fma_f32 v[38:39], v[22:23], v[34:35], 0 op_sel_hi:[1,1,0]
	ds_read2_b32 v[40:41], v37 offset0:1 offset1:2
	ds_read2_b32 v[34:35], v37 offset0:2 offset1:3
	;; [unrolled: 1-line block ×8, first 2 shown]
	s_waitcnt lgkmcnt(7)
	v_pk_fma_f32 v[38:39], v[24:25], v[40:41], v[38:39]
	v_add_u32_e32 v21, 8, v37
	s_waitcnt lgkmcnt(6)
	v_pk_fma_f32 v[38:39], v[26:27], v[34:35], v[38:39]
	v_mov_b32_e32 v37, v21
	s_waitcnt lgkmcnt(5)
	v_pk_fma_f32 v[38:39], v[4:5], v[42:43], v[38:39]
	s_add_u32 s10, s10, -2
	s_waitcnt lgkmcnt(4)
	v_pk_fma_f32 v[38:39], v[28:29], v[44:45], v[38:39]
	s_addc_u32 s11, s11, -1
	s_waitcnt lgkmcnt(3)
	v_pk_fma_f32 v[38:39], v[6:7], v[46:47], v[38:39]
	s_cmp_lg_u64 s[10:11], 0
	s_waitcnt lgkmcnt(2)
	v_pk_fma_f32 v[38:39], v[30:31], v[48:49], v[38:39]
	s_waitcnt lgkmcnt(1)
	v_pk_fma_f32 v[38:39], v[8:9], v[50:51], v[38:39]
	;; [unrolled: 2-line block ×3, first 2 shown]
	s_nop 0
	v_pk_add_f32 v[38:39], v[12:13], v[38:39]
	s_nop 0
	v_mul_f32_e32 v21, 0xbfb8aa3b, v39
	v_mul_f32_e32 v40, 0xbfb8aa3b, v38
	v_fma_f32 v41, v39, s3, -v21
	v_rndne_f32_e32 v42, v21
	v_fma_f32 v43, v38, s3, -v40
	v_rndne_f32_e32 v44, v40
	v_fmac_f32_e32 v41, 0xb2a5705f, v39
	v_sub_f32_e32 v21, v21, v42
	v_fmac_f32_e32 v43, 0xb2a5705f, v38
	v_sub_f32_e32 v40, v40, v44
	v_add_f32_e32 v21, v21, v41
	v_add_f32_e32 v40, v40, v43
	v_cvt_i32_f32_e32 v42, v42
	v_cvt_i32_f32_e32 v44, v44
	v_exp_f32_e32 v21, v21
	v_exp_f32_e32 v40, v40
	v_cmp_nlt_f32_e32 vcc, s18, v38
	v_cmp_nlt_f32_e64 s[0:1], s18, v39
	v_ldexp_f32 v21, v21, v42
	v_ldexp_f32 v40, v40, v44
	v_cndmask_b32_e64 v21, 0, v21, s[0:1]
	v_cndmask_b32_e32 v40, 0, v40, vcc
	v_cmp_ngt_f32_e32 vcc, s19, v38
	v_cmp_ngt_f32_e64 s[0:1], s19, v39
	s_nop 0
	v_cndmask_b32_e32 v40, v3, v40, vcc
	v_cndmask_b32_e64 v41, v3, v21, s[0:1]
	v_pk_add_f32 v[40:41], v[40:41], 1.0 op_sel_hi:[1,0]
	s_nop 0
	v_div_scale_f32 v21, s[0:1], v41, v41, v39
	v_div_scale_f32 v43, s[0:1], v40, v40, v38
	v_rcp_f32_e32 v45, v21
	v_rcp_f32_e32 v46, v43
	v_div_scale_f32 v42, vcc, v39, v41, v39
	v_fma_f32 v47, -v21, v45, 1.0
	v_fma_f32 v48, -v43, v46, 1.0
	v_fmac_f32_e32 v45, v47, v45
	v_div_scale_f32 v44, s[0:1], v38, v40, v38
	v_fmac_f32_e32 v46, v48, v46
	v_mul_f32_e32 v47, v42, v45
	v_mul_f32_e32 v48, v44, v46
	v_fma_f32 v49, -v21, v47, v42
	v_fma_f32 v50, -v43, v48, v44
	v_fmac_f32_e32 v47, v49, v45
	v_fmac_f32_e32 v48, v50, v46
	v_fma_f32 v21, -v21, v47, v42
	v_fma_f32 v42, -v43, v48, v44
	v_div_fmas_f32 v21, v21, v45, v47
	s_mov_b64 vcc, s[0:1]
	v_div_fixup_f32 v39, v21, v41, v39
	v_div_fmas_f32 v21, v42, v46, v48
	v_div_fixup_f32 v38, v21, v40, v38
	global_store_dwordx2 v[0:1], v[38:39], off
	v_lshl_add_u64 v[0:1], v[0:1], 0, 8
	s_cbranch_scc1 .LBB7_41
; %bb.42:
	s_cmp_lg_u64 s[6:7], s[4:5]
	s_cselect_b64 s[0:1], -1, 0
	s_and_b64 vcc, exec, s[0:1]
	s_cbranch_vccnz .LBB7_44
	s_branch .LBB7_46
.LBB7_43:
	s_mov_b64 s[4:5], 0
	s_cbranch_execz .LBB7_46
.LBB7_44:
	s_ashr_i32 s3, s2, 31
	s_sub_u32 s0, s6, s4
	s_subb_u32 s1, s7, s5
	s_add_u32 s5, s12, s14
	s_mul_hi_i32 s7, s4, s2
	s_mul_i32 s6, s4, s2
	s_addc_u32 s10, s13, s15
	s_lshl_b64 s[6:7], s[6:7], 2
	s_add_u32 s5, s5, s6
	s_addc_u32 s7, s10, s7
	s_add_u32 s6, s8, s16
	s_addc_u32 s8, s9, s17
	;; [unrolled: 2-line block ×3, first 2 shown]
	s_lshl_b32 s4, s4, 2
	s_add_i32 s4, s4, 0
	v_add_u32_e32 v6, s4, v36
	ds_read_b32 v4, v6
	v_mov_b32_e32 v21, 0
	v_lshl_add_u64 v[0:1], s[6:7], 0, v[20:21]
	s_lshl_b64 s[2:3], s[2:3], 2
	s_mov_b32 s4, 0xbfb8aa3b
	s_mov_b32 s5, 0x42ce8ed0
	;; [unrolled: 1-line block ×3, first 2 shown]
	v_mov_b32_e32 v3, 0x7f800000
.LBB7_45:                               ; =>This Inner Loop Header: Depth=1
	s_waitcnt lgkmcnt(0)
	v_fma_f32 v7, v2, v4, 0
	ds_read2_b32 v[4:5], v6 offset0:1 offset1:2
	ds_read2_b32 v[8:9], v6 offset0:3 offset1:4
	;; [unrolled: 1-line block ×4, first 2 shown]
	v_add_u32_e32 v13, 4, v6
	s_waitcnt lgkmcnt(3)
	v_pk_mul_f32 v[24:25], v[14:15], v[4:5]
	s_waitcnt lgkmcnt(2)
	v_pk_mul_f32 v[8:9], v[16:17], v[8:9]
	v_add_f32_e32 v5, v7, v24
	v_add_f32_e32 v5, v5, v25
	;; [unrolled: 1-line block ×3, first 2 shown]
	s_waitcnt lgkmcnt(1)
	v_pk_mul_f32 v[20:21], v[18:19], v[20:21]
	v_add_f32_e32 v5, v5, v9
	v_add_f32_e32 v5, v5, v20
	s_waitcnt lgkmcnt(0)
	v_pk_mul_f32 v[22:23], v[10:11], v[22:23]
	v_add_f32_e32 v5, v5, v21
	v_add_f32_e32 v5, v5, v22
	;; [unrolled: 1-line block ×4, first 2 shown]
	v_mul_f32_e32 v7, 0xbfb8aa3b, v5
	v_fma_f32 v8, v5, s4, -v7
	v_rndne_f32_e32 v9, v7
	v_fmac_f32_e32 v8, 0xb2a5705f, v5
	v_sub_f32_e32 v7, v7, v9
	v_add_f32_e32 v7, v7, v8
	v_cvt_i32_f32_e32 v9, v9
	v_exp_f32_e32 v7, v7
	v_cmp_nlt_f32_e32 vcc, s5, v5
	v_mov_b32_e32 v6, v13
	s_add_u32 s0, s0, -1
	v_ldexp_f32 v7, v7, v9
	v_cndmask_b32_e32 v7, 0, v7, vcc
	v_cmp_ngt_f32_e32 vcc, s6, v5
	s_addc_u32 s1, s1, -1
	s_cmp_lg_u64 s[0:1], 0
	v_cndmask_b32_e32 v7, v3, v7, vcc
	v_add_f32_e32 v7, 1.0, v7
	v_div_scale_f32 v8, s[8:9], v7, v7, v5
	v_rcp_f32_e32 v9, v8
	v_div_scale_f32 v13, vcc, v5, v7, v5
	v_fma_f32 v20, -v8, v9, 1.0
	v_fmac_f32_e32 v9, v20, v9
	v_mul_f32_e32 v20, v13, v9
	v_fma_f32 v21, -v8, v20, v13
	v_fmac_f32_e32 v20, v21, v9
	v_fma_f32 v8, -v8, v20, v13
	v_div_fmas_f32 v8, v8, v9, v20
	v_div_fixup_f32 v5, v8, v7, v5
	global_store_dword v[0:1], v5, off
	v_lshl_add_u64 v[0:1], v[0:1], 0, s[2:3]
	s_cbranch_scc1 .LBB7_45
.LBB7_46:
	s_endpgm
	.section	.rodata,"a",@progbits
	.p2align	6, 0x0
	.amdhsa_kernel _ZL23ssm_conv_long_token_f32ILb1ELm128ELm9ELl32EEvPKfS1_S1_iiiiPfiiil
		.amdhsa_group_segment_fixed_size 0
		.amdhsa_private_segment_fixed_size 0
		.amdhsa_kernarg_size 72
		.amdhsa_user_sgpr_count 2
		.amdhsa_user_sgpr_dispatch_ptr 0
		.amdhsa_user_sgpr_queue_ptr 0
		.amdhsa_user_sgpr_kernarg_segment_ptr 1
		.amdhsa_user_sgpr_dispatch_id 0
		.amdhsa_user_sgpr_kernarg_preload_length 0
		.amdhsa_user_sgpr_kernarg_preload_offset 0
		.amdhsa_user_sgpr_private_segment_size 0
		.amdhsa_uses_dynamic_stack 0
		.amdhsa_enable_private_segment 0
		.amdhsa_system_sgpr_workgroup_id_x 1
		.amdhsa_system_sgpr_workgroup_id_y 1
		.amdhsa_system_sgpr_workgroup_id_z 1
		.amdhsa_system_sgpr_workgroup_info 0
		.amdhsa_system_vgpr_workitem_id 0
		.amdhsa_next_free_vgpr 54
		.amdhsa_next_free_sgpr 24
		.amdhsa_accum_offset 56
		.amdhsa_reserve_vcc 1
		.amdhsa_float_round_mode_32 0
		.amdhsa_float_round_mode_16_64 0
		.amdhsa_float_denorm_mode_32 3
		.amdhsa_float_denorm_mode_16_64 3
		.amdhsa_dx10_clamp 1
		.amdhsa_ieee_mode 1
		.amdhsa_fp16_overflow 0
		.amdhsa_tg_split 0
		.amdhsa_exception_fp_ieee_invalid_op 0
		.amdhsa_exception_fp_denorm_src 0
		.amdhsa_exception_fp_ieee_div_zero 0
		.amdhsa_exception_fp_ieee_overflow 0
		.amdhsa_exception_fp_ieee_underflow 0
		.amdhsa_exception_fp_ieee_inexact 0
		.amdhsa_exception_int_div_zero 0
	.end_amdhsa_kernel
	.section	.text._ZL23ssm_conv_long_token_f32ILb1ELm128ELm9ELl32EEvPKfS1_S1_iiiiPfiiil,"axG",@progbits,_ZL23ssm_conv_long_token_f32ILb1ELm128ELm9ELl32EEvPKfS1_S1_iiiiPfiiil,comdat
.Lfunc_end7:
	.size	_ZL23ssm_conv_long_token_f32ILb1ELm128ELm9ELl32EEvPKfS1_S1_iiiiPfiiil, .Lfunc_end7-_ZL23ssm_conv_long_token_f32ILb1ELm128ELm9ELl32EEvPKfS1_S1_iiiiPfiiil
                                        ; -- End function
	.set _ZL23ssm_conv_long_token_f32ILb1ELm128ELm9ELl32EEvPKfS1_S1_iiiiPfiiil.num_vgpr, 54
	.set _ZL23ssm_conv_long_token_f32ILb1ELm128ELm9ELl32EEvPKfS1_S1_iiiiPfiiil.num_agpr, 0
	.set _ZL23ssm_conv_long_token_f32ILb1ELm128ELm9ELl32EEvPKfS1_S1_iiiiPfiiil.numbered_sgpr, 24
	.set _ZL23ssm_conv_long_token_f32ILb1ELm128ELm9ELl32EEvPKfS1_S1_iiiiPfiiil.num_named_barrier, 0
	.set _ZL23ssm_conv_long_token_f32ILb1ELm128ELm9ELl32EEvPKfS1_S1_iiiiPfiiil.private_seg_size, 0
	.set _ZL23ssm_conv_long_token_f32ILb1ELm128ELm9ELl32EEvPKfS1_S1_iiiiPfiiil.uses_vcc, 1
	.set _ZL23ssm_conv_long_token_f32ILb1ELm128ELm9ELl32EEvPKfS1_S1_iiiiPfiiil.uses_flat_scratch, 0
	.set _ZL23ssm_conv_long_token_f32ILb1ELm128ELm9ELl32EEvPKfS1_S1_iiiiPfiiil.has_dyn_sized_stack, 0
	.set _ZL23ssm_conv_long_token_f32ILb1ELm128ELm9ELl32EEvPKfS1_S1_iiiiPfiiil.has_recursion, 0
	.set _ZL23ssm_conv_long_token_f32ILb1ELm128ELm9ELl32EEvPKfS1_S1_iiiiPfiiil.has_indirect_call, 0
	.section	.AMDGPU.csdata,"",@progbits
; Kernel info:
; codeLenInByte = 6056
; TotalNumSgprs: 30
; NumVgprs: 54
; NumAgprs: 0
; TotalNumVgprs: 54
; ScratchSize: 0
; MemoryBound: 0
; FloatMode: 240
; IeeeMode: 1
; LDSByteSize: 0 bytes/workgroup (compile time only)
; SGPRBlocks: 3
; VGPRBlocks: 6
; NumSGPRsForWavesPerEU: 30
; NumVGPRsForWavesPerEU: 54
; AccumOffset: 56
; Occupancy: 8
; WaveLimiterHint : 0
; COMPUTE_PGM_RSRC2:SCRATCH_EN: 0
; COMPUTE_PGM_RSRC2:USER_SGPR: 2
; COMPUTE_PGM_RSRC2:TRAP_HANDLER: 0
; COMPUTE_PGM_RSRC2:TGID_X_EN: 1
; COMPUTE_PGM_RSRC2:TGID_Y_EN: 1
; COMPUTE_PGM_RSRC2:TGID_Z_EN: 1
; COMPUTE_PGM_RSRC2:TIDIG_COMP_CNT: 0
; COMPUTE_PGM_RSRC3_GFX90A:ACCUM_OFFSET: 13
; COMPUTE_PGM_RSRC3_GFX90A:TG_SPLIT: 0
	.section	.text._ZL12ssm_conv_f32ILb1ELm128ELm15EEvPKfS1_S1_iiiiPfiiil,"axG",@progbits,_ZL12ssm_conv_f32ILb1ELm128ELm15EEvPKfS1_S1_iiiiPfiiil,comdat
	.globl	_ZL12ssm_conv_f32ILb1ELm128ELm15EEvPKfS1_S1_iiiiPfiiil ; -- Begin function _ZL12ssm_conv_f32ILb1ELm128ELm15EEvPKfS1_S1_iiiiPfiiil
	.p2align	8
	.type	_ZL12ssm_conv_f32ILb1ELm128ELm15EEvPKfS1_S1_iiiiPfiiil,@function
_ZL12ssm_conv_f32ILb1ELm128ELm15EEvPKfS1_S1_iiiiPfiiil: ; @_ZL12ssm_conv_f32ILb1ELm128ELm15EEvPKfS1_S1_iiiiPfiiil
; %bb.0:
	s_load_dwordx4 s[12:15], s[0:1], 0x1c
	s_load_dwordx4 s[4:7], s[0:1], 0x0
	s_load_dwordx2 s[10:11], s[0:1], 0x10
	s_mov_b32 s8, s3
	s_ashr_i32 s9, s3, 31
	s_lshl_b64 s[16:17], s[8:9], 7
	s_waitcnt lgkmcnt(0)
	s_ashr_i32 s3, s14, 31
	s_mul_i32 s3, s16, s3
	s_mul_hi_u32 s15, s16, s14
	s_lshr_b64 s[8:9], s[8:9], 25
	s_add_i32 s3, s15, s3
	s_mul_i32 s8, s8, s14
	s_add_i32 s3, s3, s8
	s_mul_i32 s8, s16, s14
	s_add_u32 s8, s6, s8
	s_addc_u32 s9, s7, s3
	s_cmp_eq_u64 s[10:11], 0
	v_lshlrev_b32_e32 v34, 2, v0
	s_cbranch_scc1 .LBB8_2
; %bb.1:
	s_lshl_b64 s[6:7], s[16:17], 2
	s_add_u32 s6, s10, s6
	s_addc_u32 s7, s11, s7
	global_load_dword v38, v34, s[6:7]
	s_load_dwordx2 s[6:7], s[0:1], 0x40
	s_waitcnt lgkmcnt(0)
	v_cmp_lt_i64_e64 s[10:11], s[6:7], 1
	s_and_b64 vcc, exec, s[10:11]
	s_cbranch_vccz .LBB8_3
	s_branch .LBB8_6
.LBB8_2:
	v_mov_b32_e32 v38, 0
	s_load_dwordx2 s[6:7], s[0:1], 0x40
	s_waitcnt lgkmcnt(0)
	v_cmp_lt_i64_e64 s[10:11], s[6:7], 1
	s_and_b64 vcc, exec, s[10:11]
	s_cbranch_vccnz .LBB8_6
.LBB8_3:
	s_ashr_i32 s3, s14, 2
	v_mul_lo_u32 v2, s3, v0
	v_ashrrev_i32_e32 v3, 31, v2
	v_lshl_add_u64 v[2:3], v[2:3], 2, s[8:9]
	global_load_dwordx3 v[28:30], v[2:3], off offset:48
	global_load_dwordx4 v[24:27], v[2:3], off offset:32
	global_load_dwordx4 v[16:19], v[2:3], off offset:16
	global_load_dwordx4 v[20:23], v[2:3], off
	s_load_dwordx2 s[14:15], s[0:1], 0x28
	s_load_dwordx4 s[8:11], s[0:1], 0x30
	s_ashr_i32 s0, s12, 31
	s_mul_hi_u32 s1, s16, s12
	s_mul_i32 s0, s16, s0
	s_mul_i32 s3, s13, s2
	s_add_i32 s0, s1, s0
	s_mul_i32 s1, s17, s12
	s_waitcnt lgkmcnt(0)
	s_mul_i32 s10, s10, s2
	s_ashr_i32 s11, s3, 31
	s_add_i32 s18, s0, s1
	s_ashr_i32 s13, s10, 31
	s_add_u32 s0, s14, s10
	s_addc_u32 s1, s15, s13
	s_ashr_i32 s2, s8, 31
	s_mul_hi_u32 s20, s16, s8
	s_mul_i32 s2, s16, s2
	s_add_i32 s2, s20, s2
	s_mul_i32 s17, s17, s8
	s_add_i32 s17, s2, s17
	s_mul_i32 s8, s16, s8
	s_add_u32 s0, s0, s8
	s_addc_u32 s1, s1, s17
	s_add_u32 s2, s4, s3
	s_mul_i32 s19, s16, s12
	s_addc_u32 s16, s5, s11
	s_add_u32 s20, s2, s19
	s_addc_u32 s21, s16, s18
	s_ashr_i32 s2, s12, 2
	v_mul_lo_u32 v36, s2, v0
	v_ashrrev_i32_e32 v37, 31, v36
	v_lshl_add_u64 v[32:33], v[36:37], 2, s[20:21]
	global_load_dwordx4 v[0:3], v[32:33], off
	global_load_dwordx4 v[4:7], v[32:33], off offset:16
	global_load_dwordx4 v[8:11], v[32:33], off offset:32
	global_load_dwordx3 v[12:14], v[32:33], off offset:48
	s_mov_b32 s33, 0xbfb8aa3b
	s_mov_b32 s60, 0x42ce8ed0
	;; [unrolled: 1-line block ×3, first 2 shown]
	v_mov_b32_e32 v35, 0
	s_cmp_eq_u64 s[6:7], 1
	s_waitcnt vmcnt(5)
	v_mov_b32_e32 v32, v17
	v_mov_b32_e32 v33, v18
	;; [unrolled: 1-line block ×10, first 2 shown]
	s_waitcnt vmcnt(3)
	v_fma_f32 v15, v20, v0, 0
	v_fmac_f32_e32 v15, v21, v1
	v_fmac_f32_e32 v15, v22, v2
	s_waitcnt vmcnt(2)
	v_pk_mov_b32 v[30:31], v[4:5], v[6:7] op_sel:[1,0]
	v_fmac_f32_e32 v15, v23, v3
	v_pk_mul_f32 v[30:31], v[32:33], v[30:31]
	v_fmac_f32_e32 v15, v16, v4
	s_waitcnt vmcnt(1)
	v_pk_mov_b32 v[40:41], v[6:7], v[8:9] op_sel:[1,0]
	v_add_f32_e32 v15, v15, v30
	v_pk_mul_f32 v[40:41], v[18:19], v[40:41]
	v_add_f32_e32 v15, v15, v31
	v_pk_mov_b32 v[42:43], v[8:9], v[10:11] op_sel:[1,0]
	v_add_f32_e32 v15, v15, v40
	v_pk_mul_f32 v[42:43], v[24:25], v[42:43]
	v_add_f32_e32 v15, v15, v41
	s_waitcnt vmcnt(0)
	v_pk_mov_b32 v[44:45], v[10:11], v[12:13] op_sel:[1,0]
	v_add_f32_e32 v15, v15, v42
	v_pk_mul_f32 v[44:45], v[26:27], v[44:45]
	v_add_f32_e32 v15, v15, v43
	v_mov_b32_e32 v46, v13
	v_mov_b32_e32 v47, v14
	v_add_f32_e32 v15, v15, v44
	v_pk_mul_f32 v[46:47], v[28:29], v[46:47]
	v_add_f32_e32 v15, v15, v45
	v_add_f32_e32 v15, v15, v46
	;; [unrolled: 1-line block ×4, first 2 shown]
	v_mul_f32_e32 v17, 0xbfb8aa3b, v15
	v_fma_f32 v30, v15, s33, -v17
	v_rndne_f32_e32 v31, v17
	v_fmac_f32_e32 v30, 0xb2a5705f, v15
	v_sub_f32_e32 v17, v17, v31
	v_add_f32_e32 v17, v17, v30
	v_cvt_i32_f32_e32 v31, v31
	v_exp_f32_e32 v30, v17
	v_cmp_nlt_f32_e32 vcc, s60, v15
	v_mov_b32_e32 v17, 0x7f800000
	v_ldexp_f32 v30, v30, v31
	v_cndmask_b32_e32 v30, 0, v30, vcc
	v_cmp_ngt_f32_e32 vcc, s61, v15
	s_nop 1
	v_cndmask_b32_e32 v30, v17, v30, vcc
	v_add_f32_e32 v30, 1.0, v30
	v_div_scale_f32 v31, s[20:21], v30, v30, v15
	v_rcp_f32_e32 v39, v31
	v_div_scale_f32 v40, vcc, v15, v30, v15
	v_fma_f32 v41, -v31, v39, 1.0
	v_fmac_f32_e32 v39, v41, v39
	v_mul_f32_e32 v41, v40, v39
	v_fma_f32 v42, -v31, v41, v40
	v_fmac_f32_e32 v41, v42, v39
	v_fma_f32 v31, -v31, v41, v40
	v_div_fmas_f32 v31, v31, v39, v41
	v_div_fixup_f32 v15, v31, v30, v15
	global_store_dword v34, v15, s[0:1]
	s_cbranch_scc1 .LBB8_6
; %bb.4:
	s_ashr_i32 s20, s9, 2
	s_ashr_i32 s21, s20, 31
	s_add_u32 s0, s6, -1
	s_addc_u32 s1, s7, -1
	s_add_u32 s2, s4, s3
	s_addc_u32 s3, s5, s11
	s_add_u32 s2, s2, s19
	s_addc_u32 s3, s3, s18
	v_lshl_add_u64 v[30:31], v[36:37], 2, s[2:3]
	s_lshl_b64 s[2:3], s[20:21], 2
	s_add_u32 s4, s8, s2
	s_addc_u32 s5, s17, s3
	s_add_u32 s6, s14, s10
	s_addc_u32 s7, s15, s13
	s_add_u32 s4, s6, s4
	s_addc_u32 s5, s7, s5
	v_lshl_add_u64 v[30:31], v[30:31], 0, 60
	v_lshl_add_u64 v[34:35], s[4:5], 0, v[34:35]
	s_mov_b64 s[4:5], 1
	s_mov_b64 s[6:7], 0
	;; [unrolled: 1-line block ×16, first 2 shown]
.LBB8_5:                                ; =>This Inner Loop Header: Depth=1
	s_mul_i32 s41, s5, 0x88888889
	s_mul_hi_u32 s42, s4, 0x88888889
	s_mul_hi_u32 s40, s5, 0x88888889
	s_add_u32 s41, s41, s42
	s_mul_i32 s39, s4, 0x88888888
	s_addc_u32 s40, s40, 0
	s_mul_hi_u32 s38, s4, 0x88888888
	s_add_u32 s39, s39, s41
	s_addc_u32 s38, s38, 0
	s_add_u32 s38, s40, s38
	s_mul_i32 s44, s5, 0x88888888
	s_addc_u32 s39, 0, 0
	s_mul_hi_u32 s43, s5, 0x88888888
	s_add_u32 s38, s44, s38
	s_addc_u32 s39, s43, s39
	s_mul_i32 s48, s9, 0x88888889
	s_mul_hi_u32 s49, s8, 0x88888889
	s_lshr_b64 s[38:39], s[38:39], 3
	s_mul_hi_u32 s47, s9, 0x88888889
	s_add_u32 s39, s48, s49
	s_mul_i32 s46, s8, 0x88888888
	s_addc_u32 s40, s47, 0
	s_mul_hi_u32 s45, s8, 0x88888888
	s_add_u32 s39, s46, s39
	s_addc_u32 s41, s45, 0
	s_add_u32 s40, s40, s41
	s_mul_i32 s51, s9, 0x88888888
	s_addc_u32 s41, 0, 0
	s_mul_hi_u32 s50, s9, 0x88888888
	s_add_u32 s40, s51, s40
	s_addc_u32 s41, s50, s41
	s_mul_i32 s55, s11, 0x88888889
	s_mul_hi_u32 s56, s10, 0x88888889
	s_lshr_b64 s[40:41], s[40:41], 3
	;; [unrolled: 16-line block ×7, first 2 shown]
	s_mul_hi_u32 s54, s21, 0x88888889
	s_add_u32 s39, s56, s43
	s_mul_i32 s52, s20, 0x88888888
	s_addc_u32 s51, s54, 0
	s_mul_hi_u32 s53, s20, 0x88888888
	s_add_u32 s39, s52, s39
	s_addc_u32 s39, s53, 0
	s_add_u32 s39, s51, s39
	s_mul_i32 s58, s21, 0x88888888
	s_addc_u32 s51, 0, 0
	global_load_dword v36, v[30:31], off
	s_mul_hi_u32 s57, s21, 0x88888888
	s_add_u32 s52, s58, s39
	s_addc_u32 s53, s57, s51
	s_mul_i32 s63, s23, 0x88888889
	s_mul_hi_u32 s64, s22, 0x88888889
	s_lshr_b64 s[52:53], s[52:53], 3
	s_mul_hi_u32 s45, s23, 0x88888889
	s_add_u32 s39, s63, s64
	s_mul_i32 s62, s22, 0x88888888
	s_addc_u32 s45, s45, 0
	s_mul_hi_u32 s59, s22, 0x88888888
	s_add_u32 s39, s62, s39
	s_addc_u32 s39, s59, 0
	s_add_u32 s39, s45, s39
	s_mul_i32 s66, s23, 0x88888888
	s_addc_u32 s45, 0, 0
	s_mul_hi_u32 s65, s23, 0x88888888
	s_add_u32 s54, s66, s39
	s_addc_u32 s55, s65, s45
	s_mul_i32 s69, s25, 0x88888889
	s_mul_hi_u32 s70, s24, 0x88888889
	s_lshr_b64 s[54:55], s[54:55], 3
	s_mul_hi_u32 s68, s25, 0x88888889
	s_add_u32 s39, s69, s70
	s_mul_i32 s67, s24, 0x88888888
	s_addc_u32 s45, s68, 0
	s_mul_hi_u32 s47, s24, 0x88888888
	s_add_u32 s39, s67, s39
	s_addc_u32 s47, s47, 0
	s_add_u32 s45, s45, s47
	s_mul_i32 s71, s25, 0x88888888
	s_addc_u32 s47, 0, 0
	;; [unrolled: 16-line block ×6, first 2 shown]
	s_mul_hi_u32 s57, s35, 0x88888888
	s_mul_i32 s39, s76, 15
	s_add_u32 s76, s64, s41
	s_addc_u32 s77, s57, s43
	s_mul_i32 s69, s37, 0x88888889
	s_mul_hi_u32 s72, s36, 0x88888889
	s_lshr_b64 s[76:77], s[76:77], 3
	s_mul_hi_u32 s65, s37, 0x88888889
	s_add_u32 s43, s69, s72
	s_mul_i32 s62, s36, 0x88888888
	s_addc_u32 s45, s65, 0
	s_mul_hi_u32 s59, s36, 0x88888888
	s_add_u32 s43, s62, s43
	s_addc_u32 s43, s59, 0
	s_add_u32 s43, s45, s43
	s_mul_i32 s70, s37, 0x88888888
	s_addc_u32 s45, 0, 0
	s_mul_hi_u32 s66, s37, 0x88888888
	s_add_u32 s64, s70, s43
	s_addc_u32 s65, s66, s45
	s_mul_i32 s73, s7, 0x88888889
	s_mul_hi_u32 s75, s6, 0x88888889
	s_lshr_b64 s[64:65], s[64:65], 3
	s_mul_hi_u32 s71, s7, 0x88888889
	s_add_u32 s45, s73, s75
	s_mul_i32 s68, s6, 0x88888888
	s_addc_u32 s47, s71, 0
	s_mul_hi_u32 s63, s6, 0x88888888
	s_add_u32 s45, s68, s45
	s_addc_u32 s45, s63, 0
	s_add_u32 s45, s47, s45
	s_mul_i32 s53, s38, 15
	s_mul_i32 s38, s40, 15
	;; [unrolled: 1-line block ×12, first 2 shown]
	s_addc_u32 s47, 0, 0
	s_mul_i32 s55, s58, 15
	s_mul_hi_u32 s58, s7, 0x88888888
	s_add_u32 s62, s74, s45
	s_addc_u32 s63, s58, s47
	s_lshr_b64 s[58:59], s[62:63], 3
	s_sub_i32 s45, s6, s53
	s_mul_i32 s47, s58, -15
	s_add_i32 s45, s45, 1
	s_add_i32 s47, s6, s47
	s_mul_i32 s43, s64, 15
	s_add_u32 s4, s4, 1
	s_mul_i32 s41, s76, 15
	s_waitcnt vmcnt(0)
	s_set_gpr_idx_on s47, gpr_idx(DST)
	v_mov_b32_e32 v0, v36
	s_set_gpr_idx_off
	s_addc_u32 s5, s5, 0
	s_sub_i32 s43, s6, s43
	s_set_gpr_idx_on s45, gpr_idx(SRC0)
	v_mov_b32_e32 v36, v0
	s_set_gpr_idx_off
	s_sub_i32 s41, s6, s41
	s_add_i32 s43, s43, 2
	s_sub_i32 s39, s6, s39
	v_fma_f32 v39, v20, v36, 0
	s_add_i32 s41, s41, 3
	s_set_gpr_idx_on s43, gpr_idx(SRC0)
	v_mov_b32_e32 v36, v0
	s_set_gpr_idx_off
	s_sub_i32 s45, s6, s56
	s_add_i32 s39, s39, 4
	v_fmac_f32_e32 v39, v21, v36
	s_set_gpr_idx_on s41, gpr_idx(SRC0)
	v_mov_b32_e32 v36, v0
	s_set_gpr_idx_off
	s_sub_i32 s47, s6, s55
	s_add_i32 s45, s45, 5
	v_fmac_f32_e32 v39, v22, v36
	;; [unrolled: 6-line block ×4, first 2 shown]
	s_set_gpr_idx_on s47, gpr_idx(SRC0)
	v_mov_b32_e32 v36, v0
	s_set_gpr_idx_off
	s_sub_i32 s50, s6, s50
	s_add_i32 s51, s51, 8
	s_set_gpr_idx_on s49, gpr_idx(SRC0)
	v_mov_b32_e32 v37, v0
	s_set_gpr_idx_off
	s_sub_i32 s48, s6, s48
	s_add_i32 s50, s50, 9
	v_pk_mul_f32 v[36:37], v[32:33], v[36:37]
	s_set_gpr_idx_on s51, gpr_idx(SRC0)
	v_mov_b32_e32 v40, v0
	s_set_gpr_idx_off
	s_sub_i32 s46, s6, s46
	s_add_i32 s48, s48, 10
	v_add_f32_e32 v36, v39, v36
	s_set_gpr_idx_on s50, gpr_idx(SRC0)
	v_mov_b32_e32 v41, v0
	s_set_gpr_idx_off
	s_sub_i32 s44, s6, s44
	s_add_i32 s46, s46, 11
	v_add_f32_e32 v39, v36, v37
	v_pk_mul_f32 v[36:37], v[18:19], v[40:41]
	s_set_gpr_idx_on s48, gpr_idx(SRC0)
	v_mov_b32_e32 v40, v0
	s_set_gpr_idx_off
	s_sub_i32 s42, s6, s42
	s_add_i32 s44, s44, 12
	v_add_f32_e32 v36, v39, v36
	s_set_gpr_idx_on s46, gpr_idx(SRC0)
	v_mov_b32_e32 v41, v0
	s_set_gpr_idx_off
	s_sub_i32 s40, s6, s40
	s_add_i32 s42, s42, 13
	v_add_f32_e32 v39, v36, v37
	v_pk_mul_f32 v[36:37], v[24:25], v[40:41]
	s_set_gpr_idx_on s44, gpr_idx(SRC0)
	v_mov_b32_e32 v40, v0
	s_set_gpr_idx_off
	s_sub_i32 s38, s6, s38
	s_add_i32 s40, s40, 14
	v_add_f32_e32 v36, v39, v36
	s_set_gpr_idx_on s42, gpr_idx(SRC0)
	v_mov_b32_e32 v41, v0
	s_set_gpr_idx_off
	s_add_i32 s38, s38, 15
	v_add_f32_e32 v39, v36, v37
	v_pk_mul_f32 v[36:37], v[26:27], v[40:41]
	s_set_gpr_idx_on s40, gpr_idx(SRC0)
	v_mov_b32_e32 v40, v0
	s_set_gpr_idx_off
	s_add_u32 s6, s6, 1
	v_add_f32_e32 v36, v39, v36
	s_set_gpr_idx_on s38, gpr_idx(SRC0)
	v_mov_b32_e32 v41, v0
	s_set_gpr_idx_off
	s_addc_u32 s7, s7, 0
	v_add_f32_e32 v39, v36, v37
	v_pk_mul_f32 v[36:37], v[28:29], v[40:41]
	s_add_u32 s8, s8, 1
	v_add_f32_e32 v36, v39, v36
	s_addc_u32 s9, s9, 0
	v_add_f32_e32 v36, v36, v37
	s_add_u32 s10, s10, 1
	v_add_f32_e32 v36, v38, v36
	s_addc_u32 s11, s11, 0
	v_mul_f32_e32 v37, 0xbfb8aa3b, v36
	s_add_u32 s12, s12, 1
	v_fma_f32 v39, v36, s33, -v37
	v_rndne_f32_e32 v40, v37
	s_addc_u32 s13, s13, 0
	v_fmac_f32_e32 v39, 0xb2a5705f, v36
	v_sub_f32_e32 v37, v37, v40
	s_add_u32 s14, s14, 1
	v_add_f32_e32 v37, v37, v39
	s_addc_u32 s15, s15, 0
	v_cvt_i32_f32_e32 v40, v40
	v_exp_f32_e32 v37, v37
	s_add_u32 s16, s16, 1
	s_addc_u32 s17, s17, 0
	s_add_u32 s18, s18, 1
	s_addc_u32 s19, s19, 0
	v_ldexp_f32 v37, v37, v40
	v_cmp_nlt_f32_e32 vcc, s60, v36
	s_add_u32 s20, s20, 1
	s_addc_u32 s21, s21, 0
	v_cndmask_b32_e32 v37, 0, v37, vcc
	v_cmp_ngt_f32_e32 vcc, s61, v36
	s_add_u32 s22, s22, 1
	s_addc_u32 s23, s23, 0
	v_cndmask_b32_e32 v37, v17, v37, vcc
	v_add_f32_e32 v37, 1.0, v37
	v_div_scale_f32 v39, s[38:39], v37, v37, v36
	s_add_u32 s24, s24, 1
	v_rcp_f32_e32 v41, v39
	s_addc_u32 s25, s25, 0
	s_add_u32 s26, s26, 1
	s_addc_u32 s27, s27, 0
	s_add_u32 s28, s28, 1
	v_fma_f32 v42, -v39, v41, 1.0
	s_addc_u32 s29, s29, 0
	v_div_scale_f32 v40, vcc, v36, v37, v36
	v_fmac_f32_e32 v41, v42, v41
	s_add_u32 s30, s30, 1
	v_mul_f32_e32 v42, v40, v41
	s_addc_u32 s31, s31, 0
	v_fma_f32 v43, -v39, v42, v40
	s_add_u32 s34, s34, 1
	v_fmac_f32_e32 v42, v43, v41
	s_addc_u32 s35, s35, 0
	v_fma_f32 v39, -v39, v42, v40
	s_add_u32 s36, s36, 1
	v_div_fmas_f32 v39, v39, v41, v42
	s_addc_u32 s37, s37, 0
	v_div_fixup_f32 v36, v39, v37, v36
	v_lshl_add_u64 v[30:31], v[30:31], 0, 4
	s_cmp_eq_u64 s[0:1], s[6:7]
	global_store_dword v[34:35], v36, off
	v_lshl_add_u64 v[34:35], v[34:35], 0, s[2:3]
	s_cbranch_scc0 .LBB8_5
.LBB8_6:
	s_endpgm
	.section	.rodata,"a",@progbits
	.p2align	6, 0x0
	.amdhsa_kernel _ZL12ssm_conv_f32ILb1ELm128ELm15EEvPKfS1_S1_iiiiPfiiil
		.amdhsa_group_segment_fixed_size 0
		.amdhsa_private_segment_fixed_size 0
		.amdhsa_kernarg_size 72
		.amdhsa_user_sgpr_count 2
		.amdhsa_user_sgpr_dispatch_ptr 0
		.amdhsa_user_sgpr_queue_ptr 0
		.amdhsa_user_sgpr_kernarg_segment_ptr 1
		.amdhsa_user_sgpr_dispatch_id 0
		.amdhsa_user_sgpr_kernarg_preload_length 0
		.amdhsa_user_sgpr_kernarg_preload_offset 0
		.amdhsa_user_sgpr_private_segment_size 0
		.amdhsa_uses_dynamic_stack 0
		.amdhsa_enable_private_segment 0
		.amdhsa_system_sgpr_workgroup_id_x 1
		.amdhsa_system_sgpr_workgroup_id_y 1
		.amdhsa_system_sgpr_workgroup_id_z 0
		.amdhsa_system_sgpr_workgroup_info 0
		.amdhsa_system_vgpr_workitem_id 0
		.amdhsa_next_free_vgpr 48
		.amdhsa_next_free_sgpr 84
		.amdhsa_accum_offset 48
		.amdhsa_reserve_vcc 1
		.amdhsa_float_round_mode_32 0
		.amdhsa_float_round_mode_16_64 0
		.amdhsa_float_denorm_mode_32 3
		.amdhsa_float_denorm_mode_16_64 3
		.amdhsa_dx10_clamp 1
		.amdhsa_ieee_mode 1
		.amdhsa_fp16_overflow 0
		.amdhsa_tg_split 0
		.amdhsa_exception_fp_ieee_invalid_op 0
		.amdhsa_exception_fp_denorm_src 0
		.amdhsa_exception_fp_ieee_div_zero 0
		.amdhsa_exception_fp_ieee_overflow 0
		.amdhsa_exception_fp_ieee_underflow 0
		.amdhsa_exception_fp_ieee_inexact 0
		.amdhsa_exception_int_div_zero 0
	.end_amdhsa_kernel
	.section	.text._ZL12ssm_conv_f32ILb1ELm128ELm15EEvPKfS1_S1_iiiiPfiiil,"axG",@progbits,_ZL12ssm_conv_f32ILb1ELm128ELm15EEvPKfS1_S1_iiiiPfiiil,comdat
.Lfunc_end8:
	.size	_ZL12ssm_conv_f32ILb1ELm128ELm15EEvPKfS1_S1_iiiiPfiiil, .Lfunc_end8-_ZL12ssm_conv_f32ILb1ELm128ELm15EEvPKfS1_S1_iiiiPfiiil
                                        ; -- End function
	.set _ZL12ssm_conv_f32ILb1ELm128ELm15EEvPKfS1_S1_iiiiPfiiil.num_vgpr, 48
	.set _ZL12ssm_conv_f32ILb1ELm128ELm15EEvPKfS1_S1_iiiiPfiiil.num_agpr, 0
	.set _ZL12ssm_conv_f32ILb1ELm128ELm15EEvPKfS1_S1_iiiiPfiiil.numbered_sgpr, 84
	.set _ZL12ssm_conv_f32ILb1ELm128ELm15EEvPKfS1_S1_iiiiPfiiil.num_named_barrier, 0
	.set _ZL12ssm_conv_f32ILb1ELm128ELm15EEvPKfS1_S1_iiiiPfiiil.private_seg_size, 0
	.set _ZL12ssm_conv_f32ILb1ELm128ELm15EEvPKfS1_S1_iiiiPfiiil.uses_vcc, 1
	.set _ZL12ssm_conv_f32ILb1ELm128ELm15EEvPKfS1_S1_iiiiPfiiil.uses_flat_scratch, 0
	.set _ZL12ssm_conv_f32ILb1ELm128ELm15EEvPKfS1_S1_iiiiPfiiil.has_dyn_sized_stack, 0
	.set _ZL12ssm_conv_f32ILb1ELm128ELm15EEvPKfS1_S1_iiiiPfiiil.has_recursion, 0
	.set _ZL12ssm_conv_f32ILb1ELm128ELm15EEvPKfS1_S1_iiiiPfiiil.has_indirect_call, 0
	.section	.AMDGPU.csdata,"",@progbits
; Kernel info:
; codeLenInByte = 3248
; TotalNumSgprs: 90
; NumVgprs: 48
; NumAgprs: 0
; TotalNumVgprs: 48
; ScratchSize: 0
; MemoryBound: 0
; FloatMode: 240
; IeeeMode: 1
; LDSByteSize: 0 bytes/workgroup (compile time only)
; SGPRBlocks: 11
; VGPRBlocks: 5
; NumSGPRsForWavesPerEU: 90
; NumVGPRsForWavesPerEU: 48
; AccumOffset: 48
; Occupancy: 8
; WaveLimiterHint : 0
; COMPUTE_PGM_RSRC2:SCRATCH_EN: 0
; COMPUTE_PGM_RSRC2:USER_SGPR: 2
; COMPUTE_PGM_RSRC2:TRAP_HANDLER: 0
; COMPUTE_PGM_RSRC2:TGID_X_EN: 1
; COMPUTE_PGM_RSRC2:TGID_Y_EN: 1
; COMPUTE_PGM_RSRC2:TGID_Z_EN: 0
; COMPUTE_PGM_RSRC2:TIDIG_COMP_CNT: 0
; COMPUTE_PGM_RSRC3_GFX90A:ACCUM_OFFSET: 11
; COMPUTE_PGM_RSRC3_GFX90A:TG_SPLIT: 0
	.section	.text._ZL23ssm_conv_long_token_f32ILb1ELm128ELm15ELl32EEvPKfS1_S1_iiiiPfiiil,"axG",@progbits,_ZL23ssm_conv_long_token_f32ILb1ELm128ELm15ELl32EEvPKfS1_S1_iiiiPfiiil,comdat
	.globl	_ZL23ssm_conv_long_token_f32ILb1ELm128ELm15ELl32EEvPKfS1_S1_iiiiPfiiil ; -- Begin function _ZL23ssm_conv_long_token_f32ILb1ELm128ELm15ELl32EEvPKfS1_S1_iiiiPfiiil
	.p2align	8
	.type	_ZL23ssm_conv_long_token_f32ILb1ELm128ELm15ELl32EEvPKfS1_S1_iiiiPfiiil,@function
_ZL23ssm_conv_long_token_f32ILb1ELm128ELm15ELl32EEvPKfS1_S1_iiiiPfiiil: ; @_ZL23ssm_conv_long_token_f32ILb1ELm128ELm15ELl32EEvPKfS1_S1_iiiiPfiiil
; %bb.0:
	s_load_dwordx4 s[8:11], s[0:1], 0x18
	s_load_dwordx2 s[12:13], s[0:1], 0x0
	s_mov_b32 s6, s3
	v_mul_u32_u24_e32 v1, 0x591, v0
	v_lshrrev_b32_e32 v1, 16, v1
	s_waitcnt lgkmcnt(0)
	s_mul_i32 s3, s10, s2
	s_ashr_i32 s5, s3, 31
	s_add_u32 s3, s12, s3
	s_addc_u32 s5, s13, s5
	s_ashr_i32 s7, s6, 31
	s_lshl_b64 s[12:13], s[6:7], 7
	s_ashr_i32 s10, s9, 31
	s_mul_i32 s10, s12, s10
	s_mul_hi_u32 s14, s12, s9
	s_lshr_b64 s[6:7], s[6:7], 25
	s_add_i32 s10, s14, s10
	s_mul_i32 s6, s6, s9
	s_add_i32 s10, s10, s6
	s_mul_i32 s6, s12, s9
	s_add_u32 s3, s3, s6
	s_addc_u32 s6, s5, s10
	s_ashr_i32 s5, s4, 31
	s_lshl_b64 s[14:15], s[4:5], 5
	s_ashr_i32 s7, s8, 31
	s_mul_i32 s7, s14, s7
	s_mul_hi_u32 s10, s14, s8
	s_lshr_b64 s[4:5], s[4:5], 27
	s_add_i32 s7, s10, s7
	s_mul_i32 s4, s4, s8
	s_add_i32 s7, s7, s4
	s_mul_i32 s4, s14, s8
	s_add_u32 s16, s3, s4
	v_mul_lo_u16_e32 v2, 46, v1
	s_addc_u32 s17, s6, s7
	s_ashr_i32 s3, s9, 2
	v_sub_u16_e32 v4, v0, v2
	v_mad_u64_u32 v[2:3], s[4:5], s3, v1, v[4:5]
	v_ashrrev_i32_e32 v3, 31, v2
	v_lshl_add_u64 v[2:3], v[2:3], 2, s[16:17]
	global_load_dword v3, v[2:3], off
	v_or_b32_e32 v2, 0xffffff80, v4
	v_lshrrev_b16_e32 v5, 1, v2
	v_and_b32_e32 v5, 0x7f, v5
	v_mul_lo_u16_e32 v5, 0xb3, v5
	v_lshrrev_b16_e32 v5, 12, v5
	v_add_u32_e32 v9, v1, v5
	v_mul_lo_u16_e32 v5, 46, v5
	v_sub_u16_e32 v5, v2, v5
	v_and_b32_e32 v2, 0xff, v5
	v_or_b32_e32 v5, 0xffffff80, v5
	v_lshrrev_b16_e32 v8, 1, v5
	v_and_b32_e32 v8, 0x7f, v8
	v_mul_lo_u16_e32 v8, 0xb3, v8
	v_lshrrev_b16_e32 v8, 12, v8
	v_add_u32_e32 v13, v9, v8
	v_mul_lo_u16_e32 v8, 46, v8
	v_sub_u16_e32 v5, v5, v8
	v_and_b32_e32 v8, 0xff, v5
	;; [unrolled: 9-line block ×4, first 2 shown]
	v_mad_u64_u32 v[10:11], s[4:5], v13, s3, v[8:9]
	v_mad_u64_u32 v[14:15], s[4:5], v17, s3, v[12:13]
	;; [unrolled: 1-line block ×3, first 2 shown]
	v_ashrrev_i32_e32 v11, 31, v10
	v_ashrrev_i32_e32 v15, 31, v14
	;; [unrolled: 1-line block ×3, first 2 shown]
	v_or_b32_e32 v5, 0xffffff80, v5
	v_lshl_add_u64 v[10:11], v[10:11], 2, s[16:17]
	v_lshl_add_u64 v[14:15], v[14:15], 2, s[16:17]
	;; [unrolled: 1-line block ×3, first 2 shown]
	v_mul_u32_u24_e32 v1, 0xb8, v1
	v_lshlrev_b32_e32 v4, 2, v4
	v_add3_u32 v1, 0, v1, v4
	s_movk_i32 s6, 0xb8
	s_movk_i32 s7, 0x80
	s_waitcnt vmcnt(0)
	v_mad_u64_u32 v[6:7], s[4:5], v9, s3, v[2:3]
	v_ashrrev_i32_e32 v7, 31, v6
	v_lshl_add_u64 v[6:7], v[6:7], 2, s[16:17]
	global_load_dword v21, v[6:7], off
	global_load_dword v22, v[10:11], off
	;; [unrolled: 1-line block ×4, first 2 shown]
	v_lshrrev_b16_e32 v6, 1, v5
	v_and_b32_e32 v6, 0x7f, v6
	v_mul_lo_u16_e32 v6, 0xb3, v6
	v_lshrrev_b16_e32 v6, 12, v6
	v_add_u32_e32 v7, v20, v6
	v_mul_lo_u16_e32 v6, 46, v6
	v_sub_u16_e32 v5, v5, v6
	v_and_b32_e32 v6, 0xff, v5
	v_mad_u64_u32 v[10:11], s[4:5], v7, s3, v[6:7]
	v_ashrrev_i32_e32 v11, 31, v10
	v_lshl_add_u64 v[10:11], v[10:11], 2, s[16:17]
	global_load_dword v15, v[10:11], off
	v_or_b32_e32 v4, 0xffffff80, v5
	v_lshrrev_b16_e32 v5, 1, v4
	v_and_b32_e32 v5, 0x7f, v5
	v_mul_lo_u16_e32 v5, 0xb3, v5
	v_lshrrev_b16_e32 v5, 12, v5
	v_add_u32_e32 v25, v7, v5
	v_mul_lo_u16_e32 v5, 46, v5
	v_sub_u16_e32 v5, v4, v5
	v_and_b32_e32 v4, 0xff, v5
	v_mad_u64_u32 v[10:11], s[4:5], v25, s3, v[4:5]
	v_or_b32_e32 v5, 0xffffff80, v5
	v_lshrrev_b16_e32 v14, 1, v5
	v_and_b32_e32 v14, 0x7f, v14
	v_mul_lo_u16_e32 v14, 0xb3, v14
	v_lshrrev_b16_e32 v14, 12, v14
	v_add_u32_e32 v26, v25, v14
	v_mul_lo_u16_e32 v14, 46, v14
	v_sub_u16_e32 v5, v5, v14
	v_and_b32_e32 v14, 0xff, v5
	v_ashrrev_i32_e32 v11, 31, v10
	v_lshl_add_u64 v[10:11], v[10:11], 2, s[16:17]
	v_lshlrev_b32_e32 v2, 2, v2
	v_lshlrev_b32_e32 v4, 2, v4
	s_waitcnt vmcnt(0)
	v_mad_u64_u32 v[18:19], s[4:5], v26, s3, v[14:15]
	v_ashrrev_i32_e32 v19, 31, v18
	v_lshl_add_u64 v[18:19], v[18:19], 2, s[16:17]
	global_load_dword v27, v[10:11], off
	global_load_dword v28, v[18:19], off
	ds_write_b32 v1, v3
	v_mul_u32_u24_e32 v1, 0xb8, v9
	v_add3_u32 v1, 0, v1, v2
	ds_write_b32 v1, v21
	v_mul_u32_u24_e32 v1, 0xb8, v13
	v_lshlrev_b32_e32 v2, 2, v8
	v_add3_u32 v1, 0, v1, v2
	ds_write_b32 v1, v22
	v_mul_u32_u24_e32 v1, 0xb8, v17
	v_lshlrev_b32_e32 v2, 2, v12
	;; [unrolled: 4-line block ×4, first 2 shown]
	v_add3_u32 v1, 0, v1, v2
	ds_write_b32 v1, v15
	v_or_b32_e32 v1, 0xffffff80, v5
	v_lshrrev_b16_e32 v2, 1, v1
	v_and_b32_e32 v2, 0x7f, v2
	v_mul_lo_u16_e32 v2, 0xb3, v2
	v_lshrrev_b16_e32 v2, 12, v2
	v_add_u32_e32 v3, v26, v2
	v_mul_lo_u16_e32 v2, 46, v2
	v_sub_u16_e32 v1, v1, v2
	v_and_b32_e32 v2, 0xff, v1
	v_or_b32_e32 v1, 0xffffff80, v1
	v_lshrrev_b16_e32 v5, 1, v1
	v_and_b32_e32 v5, 0x7f, v5
	v_mul_lo_u16_e32 v5, 0xb3, v5
	v_lshrrev_b16_e32 v5, 12, v5
	v_add_u32_e32 v29, v3, v5
	v_mul_lo_u16_e32 v5, 46, v5
	v_sub_u16_e32 v1, v1, v5
	v_and_b32_e32 v10, 0xff, v1
	;; [unrolled: 9-line block ×3, first 2 shown]
	v_or_b32_e32 v1, 0xffffff80, v1
	v_lshrrev_b16_e32 v5, 1, v1
	v_mad_u64_u32 v[6:7], s[4:5], v3, s3, v[2:3]
	v_mad_u64_u32 v[16:17], s[4:5], v30, s3, v[12:13]
	v_and_b32_e32 v5, 0x7f, v5
	v_ashrrev_i32_e32 v7, 31, v6
	v_mad_u64_u32 v[8:9], s[4:5], v29, s3, v[10:11]
	v_ashrrev_i32_e32 v17, 31, v16
	v_mul_lo_u16_e32 v5, 0xb3, v5
	v_lshl_add_u64 v[6:7], v[6:7], 2, s[16:17]
	v_ashrrev_i32_e32 v9, 31, v8
	v_lshl_add_u64 v[16:17], v[16:17], 2, s[16:17]
	v_lshrrev_b16_e32 v5, 12, v5
	v_lshl_add_u64 v[8:9], v[8:9], 2, s[16:17]
	global_load_dword v31, v[6:7], off
	global_load_dword v32, v[8:9], off
	;; [unrolled: 1-line block ×3, first 2 shown]
	v_add_u32_e32 v17, v30, v5
	v_mul_lo_u16_e32 v5, 46, v5
	v_sub_u16_e32 v1, v1, v5
	v_mul_lo_u32 v5, v25, s6
	v_add3_u32 v4, 0, v5, v4
	v_mul_lo_u32 v3, v3, s6
	v_lshlrev_b32_e32 v2, 2, v2
	v_and_b32_e32 v16, 0xff, v1
	v_lshlrev_b32_e32 v5, 2, v14
	v_mad_u64_u32 v[6:7], s[4:5], v17, s3, v[16:17]
	v_ashrrev_i32_e32 v7, 31, v6
	v_lshl_add_u64 v[6:7], v[6:7], 2, s[16:17]
	s_waitcnt vmcnt(4)
	ds_write_b32 v4, v27
	v_mul_lo_u32 v4, v26, s6
	v_add3_u32 v26, 0, v3, v2
	v_or_b32_e32 v2, 0xffffff80, v1
	v_lshrrev_b16_e32 v1, 1, v2
	v_and_b32_e32 v1, 0x7f, v1
	v_mul_lo_u16_e32 v1, 0xb3, v1
	v_lshrrev_b16_e32 v3, 12, v1
	v_add_u32_e32 v1, v17, v3
	v_mul_lo_u16_e32 v3, 46, v3
	v_sub_u16_e32 v3, v2, v3
	v_add3_u32 v4, 0, v4, v5
	v_and_b32_e32 v2, 0xff, v3
	s_waitcnt vmcnt(3)
	ds_write_b32 v4, v28
	v_mad_u64_u32 v[4:5], s[4:5], v1, s3, v[2:3]
	v_ashrrev_i32_e32 v5, 31, v4
	v_lshl_add_u64 v[18:19], v[4:5], 2, s[16:17]
	v_or_b32_e32 v4, 0xffffff80, v3
	v_lshrrev_b16_e32 v3, 1, v4
	v_and_b32_e32 v3, 0x7f, v3
	v_mul_lo_u16_e32 v3, 0xb3, v3
	v_lshrrev_b16_e32 v5, 12, v3
	v_add_u32_e32 v3, v1, v5
	v_mul_lo_u16_e32 v5, 46, v5
	v_sub_u16_e32 v5, v4, v5
	v_and_b32_e32 v4, 0xff, v5
	global_load_dword v34, v[6:7], off
	v_mad_u64_u32 v[6:7], s[4:5], v3, s3, v[4:5]
	v_ashrrev_i32_e32 v7, 31, v6
	v_lshl_add_u64 v[20:21], v[6:7], 2, s[16:17]
	v_or_b32_e32 v6, 0xffffff80, v5
	v_lshrrev_b16_e32 v5, 1, v6
	v_and_b32_e32 v5, 0x7f, v5
	v_mul_lo_u16_e32 v5, 0xb3, v5
	v_lshrrev_b16_e32 v7, 12, v5
	v_add_u32_e32 v5, v3, v7
	v_mul_lo_u16_e32 v7, 46, v7
	v_sub_u16_e32 v7, v6, v7
	v_and_b32_e32 v6, 0xff, v7
	v_mad_u64_u32 v[8:9], s[4:5], v5, s3, v[6:7]
	v_ashrrev_i32_e32 v9, 31, v8
	v_lshl_add_u64 v[22:23], v[8:9], 2, s[16:17]
	v_or_b32_e32 v8, 0xffffff80, v7
	v_lshrrev_b16_e32 v7, 1, v8
	v_and_b32_e32 v7, 0x7f, v7
	v_mul_lo_u16_e32 v7, 0xb3, v7
	v_lshrrev_b16_e32 v9, 12, v7
	v_add_u32_e32 v7, v5, v9
	v_mul_lo_u16_e32 v9, 46, v9
	v_sub_u16_e32 v27, v8, v9
	v_and_b32_e32 v8, 0xff, v27
	v_mad_u64_u32 v[14:15], s[4:5], v7, s3, v[8:9]
	v_ashrrev_i32_e32 v15, 31, v14
	v_lshl_add_u64 v[24:25], v[14:15], 2, s[16:17]
	global_load_dword v15, v[18:19], off
	global_load_dword v13, v[20:21], off
	;; [unrolled: 1-line block ×4, first 2 shown]
	v_mul_lo_u32 v14, v29, s6
	v_lshlrev_b32_e32 v10, 2, v10
	v_add3_u32 v10, 0, v14, v10
	v_lshlrev_b32_e32 v12, 2, v12
	v_lshlrev_b32_e32 v2, 2, v2
	s_waitcnt vmcnt(7)
	ds_write_b32 v26, v31
	s_waitcnt vmcnt(6)
	ds_write_b32 v10, v32
	v_mul_lo_u32 v10, v30, s6
	v_add3_u32 v10, 0, v10, v12
	s_waitcnt vmcnt(5)
	ds_write_b32 v10, v33
	v_mul_lo_u32 v10, v17, s6
	v_lshlrev_b32_e32 v12, 2, v16
	v_add3_u32 v10, 0, v10, v12
	v_mul_lo_u32 v1, v1, s6
	v_add3_u32 v1, 0, v1, v2
	v_lshlrev_b32_e32 v2, 2, v4
	s_waitcnt vmcnt(4)
	ds_write_b32 v10, v34
	v_or_b32_e32 v10, 0xffffff80, v27
	v_lshrrev_b16_e32 v12, 1, v10
	v_and_b32_e32 v12, 0x7f, v12
	v_mul_lo_u16_e32 v12, 0xb3, v12
	v_lshrrev_b16_e32 v12, 12, v12
	v_add_u32_e32 v42, v7, v12
	v_mul_lo_u16_e32 v12, 46, v12
	v_sub_u16_e32 v12, v10, v12
	v_and_b32_e32 v10, 0xff, v12
	v_or_b32_e32 v12, 0xffffff80, v12
	v_lshrrev_b16_e32 v14, 1, v12
	v_and_b32_e32 v14, 0x7f, v14
	v_mul_lo_u16_e32 v14, 0xb3, v14
	v_lshrrev_b16_e32 v14, 12, v14
	v_add_u32_e32 v43, v42, v14
	v_mul_lo_u16_e32 v14, 46, v14
	v_sub_u16_e32 v14, v12, v14
	v_and_b32_e32 v12, 0xff, v14
	v_or_b32_e32 v14, 0xffffff80, v14
	s_waitcnt vmcnt(1)
	v_mad_u64_u32 v[16:17], s[4:5], v42, s3, v[10:11]
	v_ashrrev_i32_e32 v17, 31, v16
	v_lshl_add_u64 v[22:23], v[16:17], 2, s[16:17]
	v_mad_u64_u32 v[16:17], s[4:5], v43, s3, v[12:13]
	v_ashrrev_i32_e32 v17, 31, v16
	v_lshl_add_u64 v[26:27], v[16:17], 2, s[16:17]
	v_lshrrev_b16_e32 v16, 1, v14
	v_and_b32_e32 v16, 0x7f, v16
	v_mul_lo_u16_e32 v16, 0xb3, v16
	v_lshrrev_b16_e32 v16, 12, v16
	v_add_u32_e32 v44, v43, v16
	v_mul_lo_u16_e32 v16, 46, v16
	v_sub_u16_e32 v18, v14, v16
	v_and_b32_e32 v14, 0xff, v18
	v_mad_u64_u32 v[16:17], s[4:5], v44, s3, v[14:15]
	v_ashrrev_i32_e32 v17, 31, v16
	v_lshl_add_u64 v[30:31], v[16:17], 2, s[16:17]
	v_or_b32_e32 v16, 0xffffff80, v18
	v_lshrrev_b16_e32 v17, 1, v16
	v_and_b32_e32 v17, 0x7f, v17
	v_mul_lo_u16_e32 v17, 0xb3, v17
	v_lshrrev_b16_e32 v17, 12, v17
	v_add_u32_e32 v45, v44, v17
	v_mul_lo_u16_e32 v17, 46, v17
	v_sub_u16_e32 v17, v16, v17
	v_and_b32_e32 v16, 0xff, v17
	v_mad_u64_u32 v[18:19], s[4:5], v45, s3, v[16:17]
	v_ashrrev_i32_e32 v19, 31, v18
	v_or_b32_e32 v17, 0xffffff80, v17
	v_lshl_add_u64 v[32:33], v[18:19], 2, s[16:17]
	v_lshrrev_b16_e32 v18, 1, v17
	v_and_b32_e32 v18, 0x7f, v18
	v_mul_lo_u16_e32 v18, 0xb3, v18
	v_lshrrev_b16_e32 v18, 12, v18
	v_add_u32_e32 v19, v45, v18
	v_mul_lo_u16_e32 v18, 46, v18
	v_sub_u16_e32 v17, v17, v18
	v_and_b32_e32 v18, 0xff, v17
	v_mad_u64_u32 v[20:21], s[4:5], v19, s3, v[18:19]
	v_ashrrev_i32_e32 v21, 31, v20
	v_or_b32_e32 v17, 0xffffff80, v17
	v_lshl_add_u64 v[34:35], v[20:21], 2, s[16:17]
	v_lshrrev_b16_e32 v20, 1, v17
	v_and_b32_e32 v20, 0x7f, v20
	v_mul_lo_u16_e32 v20, 0xb3, v20
	v_lshrrev_b16_e32 v20, 12, v20
	v_add_u32_e32 v21, v19, v20
	v_mul_lo_u16_e32 v20, 46, v20
	v_sub_u16_e32 v17, v17, v20
	v_and_b32_e32 v20, 0xff, v17
	v_mad_u64_u32 v[24:25], s[4:5], v21, s3, v[20:21]
	v_ashrrev_i32_e32 v25, 31, v24
	v_or_b32_e32 v17, 0xffffff80, v17
	v_lshl_add_u64 v[36:37], v[24:25], 2, s[16:17]
	v_lshrrev_b16_e32 v24, 1, v17
	v_and_b32_e32 v24, 0x7f, v24
	v_mul_lo_u16_e32 v24, 0xb3, v24
	v_lshrrev_b16_e32 v24, 12, v24
	v_add_u32_e32 v25, v21, v24
	v_mul_lo_u16_e32 v24, 46, v24
	v_sub_u16_e32 v17, v17, v24
	v_and_b32_e32 v24, 0xff, v17
	v_mad_u64_u32 v[28:29], s[4:5], v25, s3, v[24:25]
	v_ashrrev_i32_e32 v29, 31, v28
	v_or_b32_e32 v17, 0xffffff80, v17
	v_lshl_add_u64 v[38:39], v[28:29], 2, s[16:17]
	v_lshrrev_b16_e32 v28, 1, v17
	v_and_b32_e32 v28, 0x7f, v28
	v_mul_lo_u16_e32 v28, 0xb3, v28
	v_lshrrev_b16_e32 v28, 12, v28
	v_add_u32_e32 v29, v25, v28
	v_mul_lo_u16_e32 v28, 46, v28
	v_sub_u16_e32 v17, v17, v28
	v_and_b32_e32 v28, 0xff, v17
	v_mad_u64_u32 v[40:41], s[4:5], v29, s3, v[28:29]
	v_ashrrev_i32_e32 v41, 31, v40
	v_or_b32_e32 v17, 0xffffff80, v17
	v_lshl_add_u64 v[40:41], v[40:41], 2, s[16:17]
	global_load_dword v46, v[22:23], off
	global_load_dword v47, v[26:27], off
	;; [unrolled: 1-line block ×8, first 2 shown]
	v_lshrrev_b16_e32 v22, 1, v17
	v_and_b32_e32 v22, 0x7f, v22
	v_mul_lo_u16_e32 v22, 0xb3, v22
	v_lshrrev_b16_e32 v22, 12, v22
	v_add_u32_e32 v23, v29, v22
	v_mul_lo_u16_e32 v22, 46, v22
	v_sub_u16_e32 v17, v17, v22
	v_and_b32_e32 v22, 0xff, v17
	v_or_b32_e32 v17, 0xffffff80, v17
	v_lshrrev_b16_e32 v30, 1, v17
	v_and_b32_e32 v30, 0x7f, v30
	v_mul_lo_u16_e32 v30, 0xb3, v30
	v_lshrrev_b16_e32 v30, 12, v30
	v_add_u32_e32 v31, v23, v30
	v_mul_lo_u16_e32 v30, 46, v30
	v_sub_u16_e32 v17, v17, v30
	v_mad_u64_u32 v[26:27], s[4:5], v23, s3, v[22:23]
	v_and_b32_e32 v30, 0xff, v17
	v_ashrrev_i32_e32 v27, 31, v26
	v_mad_u64_u32 v[32:33], s[4:5], v31, s3, v[30:31]
	v_lshl_add_u64 v[26:27], v[26:27], 2, s[16:17]
	v_ashrrev_i32_e32 v33, 31, v32
	v_or_b32_e32 v17, 0xffffff80, v17
	v_lshl_add_u64 v[32:33], v[32:33], 2, s[16:17]
	global_load_dword v34, v[26:27], off
	global_load_dword v35, v[32:33], off
	v_lshrrev_b16_e32 v26, 1, v17
	v_and_b32_e32 v26, 0x7f, v26
	v_mul_lo_u16_e32 v26, 0xb3, v26
	v_lshrrev_b16_e32 v26, 12, v26
	v_add_u32_e32 v27, v31, v26
	v_mul_lo_u16_e32 v26, 46, v26
	v_sub_u16_e32 v17, v17, v26
	v_and_b32_e32 v26, 0xff, v17
	v_mad_u64_u32 v[32:33], s[4:5], v27, s3, v[26:27]
	v_ashrrev_i32_e32 v33, 31, v32
	v_lshl_add_u64 v[32:33], v[32:33], 2, s[16:17]
	global_load_dword v32, v[32:33], off
	ds_write_b32 v1, v15
	v_mul_lo_u32 v1, v3, s6
	v_add3_u32 v1, 0, v1, v2
	ds_write_b32 v1, v13
	v_mul_lo_u32 v1, v5, s6
	v_lshlrev_b32_e32 v2, 2, v6
	v_add3_u32 v1, 0, v1, v2
	ds_write_b32 v1, v11
	v_mul_lo_u32 v1, v7, s6
	v_lshlrev_b32_e32 v2, 2, v8
	v_add3_u32 v1, 0, v1, v2
	s_waitcnt vmcnt(11)
	ds_write_b32 v1, v9
	v_mul_lo_u32 v1, v42, s6
	v_lshlrev_b32_e32 v2, 2, v10
	v_add3_u32 v1, 0, v1, v2
	v_lshlrev_b32_e32 v2, 2, v12
	s_waitcnt vmcnt(10)
	ds_write_b32 v1, v46
	v_mul_lo_u32 v1, v43, s6
	v_add3_u32 v1, 0, v1, v2
	s_waitcnt vmcnt(9)
	ds_write_b32 v1, v47
	v_mul_lo_u32 v1, v44, s6
	v_lshlrev_b32_e32 v2, 2, v14
	v_add3_u32 v1, 0, v1, v2
	s_waitcnt vmcnt(8)
	ds_write_b32 v1, v48
	v_mul_lo_u32 v1, v45, s6
	v_lshlrev_b32_e32 v2, 2, v16
	;; [unrolled: 5-line block ×7, first 2 shown]
	v_add3_u32 v1, 0, v1, v2
	v_lshlrev_b32_e32 v2, 2, v30
	s_waitcnt vmcnt(2)
	ds_write_b32 v1, v34
	v_mul_lo_u32 v1, v31, s6
	v_add3_u32 v1, 0, v1, v2
	s_waitcnt vmcnt(1)
	ds_write_b32 v1, v35
	v_mul_lo_u32 v1, v27, s6
	v_lshlrev_b32_e32 v2, 2, v26
	v_add3_u32 v1, 0, v1, v2
	v_or_b32_e32 v2, 0xffffff80, v17
	s_waitcnt vmcnt(0)
	ds_write_b32 v1, v32
	v_lshrrev_b16_e32 v1, 1, v2
	v_and_b32_e32 v1, 0x7f, v1
	v_mul_lo_u16_e32 v1, 0xb3, v1
	v_lshrrev_b16_e32 v3, 12, v1
	v_add_u32_e32 v1, v27, v3
	v_mul_lo_u16_e32 v3, 46, v3
	v_sub_u16_e32 v2, v2, v3
	v_and_b32_e32 v2, 0xff, v2
	v_cmp_gt_u32_e32 vcc, s7, v1
	s_and_saveexec_b64 s[4:5], vcc
	s_cbranch_execz .LBB9_2
; %bb.1:
	v_mad_u64_u32 v[4:5], s[8:9], v1, s3, v[2:3]
	v_ashrrev_i32_e32 v5, 31, v4
	v_lshl_add_u64 v[4:5], v[4:5], 2, s[16:17]
	global_load_dword v3, v[4:5], off
	v_mul_lo_u32 v4, v1, s6
	v_lshlrev_b32_e32 v5, 2, v2
	v_add3_u32 v4, 0, v4, v5
	s_waitcnt vmcnt(0)
	ds_write_b32 v4, v3
.LBB9_2:
	s_or_b64 exec, exec, s[4:5]
	v_or_b32_e32 v2, 0xffffff80, v2
	v_lshrrev_b16_e32 v3, 1, v2
	v_and_b32_e32 v3, 0x7f, v3
	v_mul_lo_u16_e32 v3, 0xb3, v3
	v_lshrrev_b16_e32 v3, 12, v3
	v_add_u32_e32 v1, v1, v3
	v_mul_lo_u16_e32 v3, 46, v3
	v_sub_u16_e32 v2, v2, v3
	v_and_b32_e32 v2, 0xff, v2
	v_cmp_gt_u32_e32 vcc, s7, v1
	s_and_saveexec_b64 s[4:5], vcc
	s_cbranch_execz .LBB9_4
; %bb.3:
	v_mad_u64_u32 v[4:5], s[6:7], v1, s3, v[2:3]
	v_ashrrev_i32_e32 v5, 31, v4
	v_lshl_add_u64 v[4:5], v[4:5], 2, s[16:17]
	global_load_dword v3, v[4:5], off
	s_movk_i32 s6, 0xb8
	v_mul_lo_u32 v4, v1, s6
	v_lshlrev_b32_e32 v5, 2, v2
	v_add3_u32 v4, 0, v4, v5
	s_waitcnt vmcnt(0)
	ds_write_b32 v4, v3
.LBB9_4:
	s_or_b64 exec, exec, s[4:5]
	v_or_b32_e32 v2, 0xffffff80, v2
	v_lshrrev_b16_e32 v3, 1, v2
	v_and_b32_e32 v3, 0x7f, v3
	v_mul_lo_u16_e32 v3, 0xb3, v3
	v_lshrrev_b16_e32 v3, 12, v3
	v_add_u32_e32 v1, v1, v3
	v_mul_lo_u16_e32 v3, 46, v3
	v_sub_u16_e32 v2, v2, v3
	s_movk_i32 s6, 0x80
	v_and_b32_e32 v2, 0xff, v2
	v_cmp_gt_u32_e32 vcc, s6, v1
	s_and_saveexec_b64 s[4:5], vcc
	s_cbranch_execz .LBB9_6
; %bb.5:
	v_mad_u64_u32 v[4:5], s[8:9], v1, s3, v[2:3]
	v_ashrrev_i32_e32 v5, 31, v4
	v_lshl_add_u64 v[4:5], v[4:5], 2, s[16:17]
	global_load_dword v3, v[4:5], off
	s_movk_i32 s7, 0xb8
	v_mul_lo_u32 v4, v1, s7
	v_lshlrev_b32_e32 v5, 2, v2
	v_add3_u32 v4, 0, v4, v5
	s_waitcnt vmcnt(0)
	ds_write_b32 v4, v3
.LBB9_6:
	s_or_b64 exec, exec, s[4:5]
	v_or_b32_e32 v2, 0xffffff80, v2
	v_lshrrev_b16_e32 v3, 1, v2
	v_and_b32_e32 v3, 0x7f, v3
	v_mul_lo_u16_e32 v3, 0xb3, v3
	v_lshrrev_b16_e32 v3, 12, v3
	v_add_u32_e32 v1, v1, v3
	v_mul_lo_u16_e32 v3, 46, v3
	v_sub_u16_e32 v2, v2, v3
	v_and_b32_e32 v2, 0xff, v2
	v_cmp_gt_u32_e32 vcc, s6, v1
	s_and_saveexec_b64 s[4:5], vcc
	s_cbranch_execz .LBB9_8
; %bb.7:
	v_mad_u64_u32 v[4:5], s[6:7], v1, s3, v[2:3]
	v_ashrrev_i32_e32 v5, 31, v4
	v_lshl_add_u64 v[4:5], v[4:5], 2, s[16:17]
	global_load_dword v3, v[4:5], off
	s_movk_i32 s6, 0xb8
	v_mul_lo_u32 v4, v1, s6
	v_lshlrev_b32_e32 v5, 2, v2
	v_add3_u32 v4, 0, v4, v5
	s_waitcnt vmcnt(0)
	ds_write_b32 v4, v3
.LBB9_8:
	s_or_b64 exec, exec, s[4:5]
	v_or_b32_e32 v2, 0xffffff80, v2
	v_lshrrev_b16_e32 v3, 1, v2
	v_and_b32_e32 v3, 0x7f, v3
	v_mul_lo_u16_e32 v3, 0xb3, v3
	v_lshrrev_b16_e32 v3, 12, v3
	v_add_u32_e32 v1, v1, v3
	v_mul_lo_u16_e32 v3, 46, v3
	v_sub_u16_e32 v2, v2, v3
	s_movk_i32 s6, 0x80
	v_and_b32_e32 v2, 0xff, v2
	v_cmp_gt_u32_e32 vcc, s6, v1
	s_and_saveexec_b64 s[4:5], vcc
	s_cbranch_execz .LBB9_10
; %bb.9:
	v_mad_u64_u32 v[4:5], s[8:9], v1, s3, v[2:3]
	v_ashrrev_i32_e32 v5, 31, v4
	v_lshl_add_u64 v[4:5], v[4:5], 2, s[16:17]
	global_load_dword v3, v[4:5], off
	s_movk_i32 s7, 0xb8
	v_mul_lo_u32 v4, v1, s7
	v_lshlrev_b32_e32 v5, 2, v2
	v_add3_u32 v4, 0, v4, v5
	s_waitcnt vmcnt(0)
	ds_write_b32 v4, v3
.LBB9_10:
	;; [unrolled: 51-line block ×5, first 2 shown]
	s_or_b64 exec, exec, s[4:5]
	v_or_b32_e32 v2, 0xffffff80, v2
	v_lshrrev_b16_e32 v3, 1, v2
	v_and_b32_e32 v3, 0x7f, v3
	v_mul_lo_u16_e32 v3, 0xb3, v3
	v_lshrrev_b16_e32 v3, 12, v3
	v_add_u32_e32 v1, v1, v3
	v_mul_lo_u16_e32 v3, 46, v3
	v_sub_u16_e32 v2, v2, v3
	v_and_b32_e32 v2, 0xff, v2
	v_cmp_gt_u32_e32 vcc, s6, v1
	s_and_saveexec_b64 s[4:5], vcc
	s_cbranch_execz .LBB9_24
; %bb.23:
	v_mad_u64_u32 v[4:5], s[6:7], v1, s3, v[2:3]
	v_ashrrev_i32_e32 v5, 31, v4
	v_lshl_add_u64 v[4:5], v[4:5], 2, s[16:17]
	global_load_dword v3, v[4:5], off
	s_movk_i32 s6, 0xb8
	v_mul_lo_u32 v4, v1, s6
	v_lshlrev_b32_e32 v5, 2, v2
	v_add3_u32 v4, 0, v4, v5
	s_waitcnt vmcnt(0)
	ds_write_b32 v4, v3
.LBB9_24:
	s_or_b64 exec, exec, s[4:5]
	s_load_dwordx4 s[4:7], s[0:1], 0x8
	s_load_dwordx2 s[8:9], s[0:1], 0x28
	s_movk_i32 s10, 0x380
	v_cmp_gt_u32_e32 vcc, s10, v0
	s_and_saveexec_b64 s[18:19], vcc
	s_cbranch_execz .LBB9_45
; %bb.25:
	v_or_b32_e32 v2, 0xffffff80, v2
	v_lshrrev_b16_e32 v3, 1, v2
	v_and_b32_e32 v3, 0x7f, v3
	v_mul_lo_u16_e32 v3, 0xb3, v3
	v_lshrrev_b16_e32 v3, 12, v3
	v_add_u32_e32 v1, v1, v3
	v_mul_lo_u16_e32 v3, 46, v3
	v_sub_u16_e32 v2, v2, v3
	s_movk_i32 s10, 0x80
	v_and_b32_e32 v2, 0xff, v2
	v_cmp_gt_u32_e32 vcc, s10, v1
	s_and_saveexec_b64 s[20:21], vcc
	s_cbranch_execz .LBB9_27
; %bb.26:
	v_mad_u64_u32 v[4:5], s[22:23], v1, s3, v[2:3]
	v_ashrrev_i32_e32 v5, 31, v4
	v_lshl_add_u64 v[4:5], v[4:5], 2, s[16:17]
	global_load_dword v3, v[4:5], off
	s_movk_i32 s10, 0xb8
	v_mul_lo_u32 v4, v1, s10
	v_lshlrev_b32_e32 v5, 2, v2
	v_add3_u32 v4, 0, v4, v5
	s_waitcnt vmcnt(0)
	ds_write_b32 v4, v3
.LBB9_27:
	s_or_b64 exec, exec, s[20:21]
	s_movk_i32 s10, 0x300
	v_cmp_gt_u32_e32 vcc, s10, v0
	s_and_b64 exec, exec, vcc
	s_cbranch_execz .LBB9_45
; %bb.28:
	v_or_b32_e32 v2, 0xffffff80, v2
	v_lshrrev_b16_e32 v3, 1, v2
	v_and_b32_e32 v3, 0x7f, v3
	v_mul_lo_u16_e32 v3, 0xb3, v3
	v_lshrrev_b16_e32 v3, 12, v3
	v_add_u32_e32 v1, v1, v3
	v_mul_lo_u16_e32 v3, 46, v3
	v_sub_u16_e32 v2, v2, v3
	s_movk_i32 s10, 0x80
	v_and_b32_e32 v2, 0xff, v2
	v_cmp_gt_u32_e32 vcc, s10, v1
	s_and_saveexec_b64 s[20:21], vcc
	s_cbranch_execz .LBB9_30
; %bb.29:
	v_mad_u64_u32 v[4:5], s[22:23], v1, s3, v[2:3]
	v_ashrrev_i32_e32 v5, 31, v4
	v_lshl_add_u64 v[4:5], v[4:5], 2, s[16:17]
	global_load_dword v3, v[4:5], off
	s_movk_i32 s10, 0xb8
	v_mul_lo_u32 v4, v1, s10
	v_lshlrev_b32_e32 v5, 2, v2
	v_add3_u32 v4, 0, v4, v5
	s_waitcnt vmcnt(0)
	ds_write_b32 v4, v3
.LBB9_30:
	s_or_b64 exec, exec, s[20:21]
	s_movk_i32 s10, 0x280
	v_cmp_gt_u32_e32 vcc, s10, v0
	s_and_b64 exec, exec, vcc
	;; [unrolled: 31-line block ×5, first 2 shown]
	s_cbranch_execz .LBB9_45
; %bb.40:
	v_or_b32_e32 v2, 0xffffff80, v2
	v_lshrrev_b16_e32 v3, 1, v2
	v_and_b32_e32 v3, 0x7f, v3
	v_mul_lo_u16_e32 v3, 0xb3, v3
	v_lshrrev_b16_e32 v3, 12, v3
	v_add_u32_e32 v1, v1, v3
	v_mul_lo_u16_e32 v3, 46, v3
	v_sub_u16_e32 v2, v2, v3
	s_movk_i32 s10, 0x80
	v_and_b32_e32 v2, 0xff, v2
	v_cmp_gt_u32_e32 vcc, s10, v1
	s_and_saveexec_b64 s[20:21], vcc
	s_cbranch_execz .LBB9_42
; %bb.41:
	v_mad_u64_u32 v[4:5], s[22:23], v1, s3, v[2:3]
	v_ashrrev_i32_e32 v5, 31, v4
	v_lshl_add_u64 v[4:5], v[4:5], 2, s[16:17]
	global_load_dword v3, v[4:5], off
	s_movk_i32 s22, 0xb8
	v_mul_lo_u32 v4, v1, s22
	v_lshlrev_b32_e32 v5, 2, v2
	v_add3_u32 v4, 0, v4, v5
	s_waitcnt vmcnt(0)
	ds_write_b32 v4, v3
.LBB9_42:
	s_or_b64 exec, exec, s[20:21]
	v_cmp_gt_u32_e32 vcc, s10, v0
	s_and_b64 exec, exec, vcc
	s_cbranch_execz .LBB9_45
; %bb.43:
	v_or_b32_e32 v2, 0x80, v2
	v_lshrrev_b16_e32 v3, 1, v2
	v_mul_lo_u16_e32 v3, 0xb3, v3
	v_lshrrev_b16_e32 v3, 12, v3
	v_add_u32_e32 v1, v1, v3
	v_cmp_gt_u32_e32 vcc, s10, v1
	s_and_b64 exec, exec, vcc
	s_cbranch_execz .LBB9_45
; %bb.44:
	v_mul_lo_u16_e32 v3, 46, v3
	v_sub_u16_e32 v2, v2, v3
	v_and_b32_e32 v2, 0xff, v2
	v_mad_u64_u32 v[4:5], s[20:21], v1, s3, v[2:3]
	v_ashrrev_i32_e32 v5, 31, v4
	v_lshl_add_u64 v[4:5], v[4:5], 2, s[16:17]
	global_load_dword v3, v[4:5], off
	s_movk_i32 s3, 0xb8
	v_mul_lo_u32 v1, v1, s3
	v_lshlrev_b32_e32 v2, 2, v2
	v_add3_u32 v1, 0, v1, v2
	s_waitcnt vmcnt(0)
	ds_write_b32 v1, v3
.LBB9_45:
	s_or_b64 exec, exec, s[18:19]
	s_ashr_i32 s3, s11, 31
	s_mul_hi_u32 s10, s12, s11
	s_mul_i32 s3, s12, s3
	s_add_i32 s3, s10, s3
	s_mul_i32 s10, s13, s11
	s_add_i32 s3, s3, s10
	s_mul_i32 s10, s12, s11
	s_waitcnt lgkmcnt(0)
	s_add_u32 s4, s4, s10
	s_addc_u32 s5, s5, s3
	s_ashr_i32 s3, s11, 2
	v_mul_lo_u32 v2, s3, v0
	v_ashrrev_i32_e32 v3, 31, v2
	v_lshl_add_u64 v[18:19], v[2:3], 2, s[4:5]
	s_barrier
	global_load_dwordx3 v[14:16], v[18:19], off offset:48
	global_load_dwordx4 v[10:13], v[18:19], off offset:32
	global_load_dwordx4 v[2:5], v[18:19], off offset:16
	global_load_dwordx4 v[6:9], v[18:19], off
	s_cmp_eq_u64 s[6:7], 0
	v_lshlrev_b32_e32 v28, 2, v0
	s_waitcnt vmcnt(3)
	v_mov_b32_e32 v17, v16
	s_cbranch_scc1 .LBB9_47
; %bb.46:
	s_lshl_b64 s[4:5], s[12:13], 2
	s_add_u32 s4, s6, s4
	s_addc_u32 s5, s7, s5
	global_load_dword v18, v28, s[4:5]
	s_branch .LBB9_48
.LBB9_47:
	v_mov_b32_e32 v18, 0
.LBB9_48:
	s_load_dwordx2 s[4:5], s[0:1], 0x40
	s_waitcnt lgkmcnt(0)
	s_sub_u32 s6, s4, s14
	s_subb_u32 s7, s5, s15
	v_cmp_lt_i64_e64 s[4:5], s[6:7], 1
	s_and_b64 vcc, exec, s[4:5]
	s_cbranch_vccnz .LBB9_56
; %bb.49:
	s_load_dwordx4 s[16:19], s[0:1], 0x30
	v_cmp_lt_u64_e64 s[4:5], s[6:7], 32
	s_waitcnt vmcnt(1)
	v_mov_b32_e32 v20, v3
	v_mov_b32_e32 v21, v4
	;; [unrolled: 1-line block ×3, first 2 shown]
	s_waitcnt lgkmcnt(0)
	s_ashr_i32 s0, s17, 31
	s_mul_hi_u32 s1, s14, s17
	s_mul_i32 s0, s14, s0
	s_add_i32 s0, s1, s0
	s_mul_i32 s1, s15, s17
	s_add_i32 s15, s0, s1
	s_ashr_i32 s0, s16, 31
	s_mul_hi_u32 s1, s12, s16
	s_mul_i32 s0, s12, s0
	s_mul_i32 s10, s18, s2
	s_add_i32 s0, s1, s0
	s_mul_i32 s1, s13, s16
	s_ashr_i32 s11, s10, 31
	s_add_i32 s13, s0, s1
	s_ashr_i32 s0, s17, 2
	s_and_b64 s[4:5], s[4:5], exec
	s_cselect_b32 s5, s7, 0
	s_cselect_b32 s4, s6, 32
	s_cmp_eq_u64 s[6:7], 1
	s_cselect_b64 s[6:7], -1, 0
	s_cmp_lg_u32 s0, 1
	s_mul_i32 s14, s14, s17
	s_mul_i32 s12, s12, s16
	s_cselect_b64 s[16:17], -1, 0
	s_or_b64 s[6:7], s[6:7], s[16:17]
	v_mov_b32_e32 v23, v10
	v_mov_b32_e32 v24, v11
	;; [unrolled: 1-line block ×6, first 2 shown]
	v_mul_u32_u24_e32 v54, 0xb8, v0
	v_mov_b32_e32 v29, 0
	s_mov_b32 s3, 0
	s_and_b64 vcc, exec, s[6:7]
	s_cbranch_vccnz .LBB9_53
; %bb.50:
	s_add_u32 s1, s8, s10
	s_addc_u32 s2, s9, s11
	v_add_u32_e32 v55, 0, v54
	s_add_u32 s1, s1, s14
	ds_read2_b32 v[52:53], v55 offset1:1
	s_addc_u32 s2, s2, s15
	s_add_u32 s6, s1, s12
	s_addc_u32 s7, s2, s13
	s_and_b32 s2, s4, 62
	v_lshl_add_u64 v[0:1], s[6:7], 0, v[28:29]
	s_waitcnt vmcnt(0)
	v_mov_b32_e32 v30, v6
	v_mov_b32_e32 v31, v6
	;; [unrolled: 1-line block ×27, first 2 shown]
	s_mov_b32 s1, 0xbfb8aa3b
	s_mov_b32 s16, 0x42ce8ed0
	;; [unrolled: 1-line block ×3, first 2 shown]
	v_mov_b32_e32 v3, 0x7f800000
	s_mov_b64 s[6:7], s[2:3]
.LBB9_51:                               ; =>This Inner Loop Header: Depth=1
	ds_read2_b32 v[56:57], v55 offset0:1 offset1:2
	ds_read2_b32 v[58:59], v55 offset0:3 offset1:4
	s_waitcnt lgkmcnt(2)
	v_pk_fma_f32 v[52:53], v[30:31], v[52:53], 0 op_sel_hi:[1,1,0]
	v_add_u32_e32 v29, 8, v55
	s_add_u32 s6, s6, -2
	s_waitcnt lgkmcnt(1)
	v_pk_fma_f32 v[56:57], v[32:33], v[56:57], v[52:53]
	ds_read2_b32 v[52:53], v55 offset0:2 offset1:3
	s_addc_u32 s7, s7, -1
	s_cmp_lg_u64 s[6:7], 0
	s_waitcnt lgkmcnt(0)
	v_pk_fma_f32 v[56:57], v[34:35], v[52:53], v[56:57]
	s_nop 0
	v_pk_fma_f32 v[56:57], v[36:37], v[58:59], v[56:57]
	ds_read2_b32 v[58:59], v55 offset0:4 offset1:5
	s_waitcnt lgkmcnt(0)
	v_pk_fma_f32 v[56:57], v[38:39], v[58:59], v[56:57]
	ds_read2_b32 v[58:59], v55 offset0:5 offset1:6
	s_waitcnt lgkmcnt(0)
	;; [unrolled: 3-line block ×11, first 2 shown]
	v_pk_fma_f32 v[56:57], v[50:51], v[58:59], v[56:57]
	s_nop 0
	v_pk_add_f32 v[56:57], v[18:19], v[56:57]
	s_nop 0
	v_mul_f32_e32 v55, 0xbfb8aa3b, v57
	v_fma_f32 v58, v57, s1, -v55
	v_rndne_f32_e32 v59, v55
	v_fmac_f32_e32 v58, 0xb2a5705f, v57
	v_sub_f32_e32 v55, v55, v59
	v_add_f32_e32 v55, v55, v58
	v_exp_f32_e32 v55, v55
	v_cvt_i32_f32_e32 v58, v59
	v_cmp_nlt_f32_e32 vcc, s16, v57
	v_ldexp_f32 v55, v55, v58
	s_nop 0
	v_cndmask_b32_e32 v55, 0, v55, vcc
	v_cmp_ngt_f32_e32 vcc, s17, v57
	s_nop 1
	v_cndmask_b32_e32 v59, v3, v55, vcc
	v_mul_f32_e32 v55, 0xbfb8aa3b, v56
	v_fma_f32 v58, v56, s1, -v55
	v_rndne_f32_e32 v60, v55
	v_fmac_f32_e32 v58, 0xb2a5705f, v56
	v_sub_f32_e32 v55, v55, v60
	v_add_f32_e32 v55, v55, v58
	v_exp_f32_e32 v55, v55
	v_cvt_i32_f32_e32 v58, v60
	v_cmp_nlt_f32_e32 vcc, s16, v56
	v_ldexp_f32 v55, v55, v58
	s_nop 0
	v_cndmask_b32_e32 v55, 0, v55, vcc
	v_cmp_ngt_f32_e32 vcc, s17, v56
	s_nop 1
	v_cndmask_b32_e32 v58, v3, v55, vcc
	v_pk_add_f32 v[58:59], v[58:59], 1.0 op_sel_hi:[1,0]
	s_nop 0
	v_div_scale_f32 v55, s[18:19], v59, v59, v57
	v_rcp_f32_e32 v60, v55
	s_nop 0
	v_fma_f32 v61, -v55, v60, 1.0
	v_fmac_f32_e32 v60, v61, v60
	v_div_scale_f32 v61, vcc, v57, v59, v57
	v_mul_f32_e32 v62, v61, v60
	v_fma_f32 v63, -v55, v62, v61
	v_fmac_f32_e32 v62, v63, v60
	v_fma_f32 v55, -v55, v62, v61
	v_div_fmas_f32 v55, v55, v60, v62
	v_div_fixup_f32 v57, v55, v59, v57
	v_div_scale_f32 v55, s[18:19], v58, v58, v56
	v_rcp_f32_e32 v59, v55
	s_nop 0
	v_fma_f32 v60, -v55, v59, 1.0
	v_fmac_f32_e32 v59, v60, v59
	v_div_scale_f32 v60, vcc, v56, v58, v56
	v_mul_f32_e32 v61, v60, v59
	v_fma_f32 v62, -v55, v61, v60
	v_fmac_f32_e32 v61, v62, v59
	v_fma_f32 v55, -v55, v61, v60
	v_div_fmas_f32 v55, v55, v59, v61
	v_div_fixup_f32 v56, v55, v58, v56
	global_store_dwordx2 v[0:1], v[56:57], off
	v_lshl_add_u64 v[0:1], v[0:1], 0, 8
	v_mov_b32_e32 v55, v29
	s_cbranch_scc1 .LBB9_51
; %bb.52:
	s_cmp_lg_u64 s[4:5], s[2:3]
	s_cselect_b64 s[6:7], -1, 0
	s_and_b64 vcc, exec, s[6:7]
	s_cbranch_vccnz .LBB9_54
	s_branch .LBB9_56
.LBB9_53:
	s_mov_b64 s[2:3], 0
	s_cbranch_execz .LBB9_56
.LBB9_54:
	s_ashr_i32 s1, s0, 31
	s_sub_u32 s4, s4, s2
	s_subb_u32 s5, s5, s3
	s_add_u32 s3, s12, s14
	s_mul_hi_i32 s7, s2, s0
	s_mul_i32 s6, s2, s0
	s_addc_u32 s12, s13, s15
	s_lshl_b64 s[6:7], s[6:7], 2
	s_add_u32 s3, s3, s6
	s_addc_u32 s7, s12, s7
	s_add_u32 s6, s8, s10
	s_addc_u32 s8, s9, s11
	;; [unrolled: 2-line block ×3, first 2 shown]
	s_lshl_b32 s2, s2, 2
	s_add_i32 s2, s2, 0
	v_add_u32_e32 v10, s2, v54
	ds_read_b32 v4, v10
	v_mov_b32_e32 v29, 0
	v_lshl_add_u64 v[0:1], s[6:7], 0, v[28:29]
	s_lshl_b64 s[0:1], s[0:1], 2
	s_mov_b32 s2, 0xbfb8aa3b
	s_mov_b32 s3, 0x42ce8ed0
	;; [unrolled: 1-line block ×3, first 2 shown]
	v_mov_b32_e32 v3, 0x7f800000
	s_waitcnt vmcnt(0)
.LBB9_55:                               ; =>This Inner Loop Header: Depth=1
	s_waitcnt lgkmcnt(0)
	v_fma_f32 v11, v6, v4, 0
	ds_read2_b32 v[4:5], v10 offset0:1 offset1:2
	ds_read2_b32 v[12:13], v10 offset0:3 offset1:4
	;; [unrolled: 1-line block ×7, first 2 shown]
	s_waitcnt lgkmcnt(6)
	v_fmac_f32_e32 v11, v7, v4
	v_fmac_f32_e32 v11, v8, v5
	s_waitcnt lgkmcnt(5)
	v_fmac_f32_e32 v11, v9, v12
	s_waitcnt lgkmcnt(4)
	v_pk_mul_f32 v[14:15], v[20:21], v[14:15]
	v_fmac_f32_e32 v11, v2, v13
	v_add_f32_e32 v5, v11, v14
	s_waitcnt lgkmcnt(3)
	v_pk_mul_f32 v[28:29], v[22:23], v[28:29]
	v_add_f32_e32 v5, v5, v15
	v_add_f32_e32 v5, v5, v28
	s_waitcnt lgkmcnt(2)
	v_pk_mul_f32 v[30:31], v[24:25], v[30:31]
	v_add_f32_e32 v5, v5, v29
	;; [unrolled: 4-line block ×4, first 2 shown]
	v_add_f32_e32 v5, v5, v34
	v_add_f32_e32 v5, v5, v35
	;; [unrolled: 1-line block ×3, first 2 shown]
	v_mul_f32_e32 v11, 0xbfb8aa3b, v5
	v_fma_f32 v12, v5, s2, -v11
	v_rndne_f32_e32 v13, v11
	v_fmac_f32_e32 v12, 0xb2a5705f, v5
	v_sub_f32_e32 v11, v11, v13
	v_add_f32_e32 v11, v11, v12
	v_cvt_i32_f32_e32 v13, v13
	v_exp_f32_e32 v11, v11
	v_cmp_nlt_f32_e32 vcc, s3, v5
	v_add_u32_e32 v19, 4, v10
	v_mov_b32_e32 v10, v19
	v_ldexp_f32 v11, v11, v13
	v_cndmask_b32_e32 v11, 0, v11, vcc
	v_cmp_ngt_f32_e32 vcc, s6, v5
	s_add_u32 s4, s4, -1
	s_addc_u32 s5, s5, -1
	v_cndmask_b32_e32 v11, v3, v11, vcc
	v_add_f32_e32 v11, 1.0, v11
	v_div_scale_f32 v12, s[8:9], v11, v11, v5
	v_rcp_f32_e32 v13, v12
	v_div_scale_f32 v14, vcc, v5, v11, v5
	s_cmp_lg_u64 s[4:5], 0
	v_fma_f32 v15, -v12, v13, 1.0
	v_fmac_f32_e32 v13, v15, v13
	v_mul_f32_e32 v15, v14, v13
	v_fma_f32 v19, -v12, v15, v14
	v_fmac_f32_e32 v15, v19, v13
	v_fma_f32 v12, -v12, v15, v14
	v_div_fmas_f32 v12, v12, v13, v15
	v_div_fixup_f32 v5, v12, v11, v5
	global_store_dword v[0:1], v5, off
	v_lshl_add_u64 v[0:1], v[0:1], 0, s[0:1]
	s_cbranch_scc1 .LBB9_55
.LBB9_56:
	s_endpgm
	.section	.rodata,"a",@progbits
	.p2align	6, 0x0
	.amdhsa_kernel _ZL23ssm_conv_long_token_f32ILb1ELm128ELm15ELl32EEvPKfS1_S1_iiiiPfiiil
		.amdhsa_group_segment_fixed_size 0
		.amdhsa_private_segment_fixed_size 0
		.amdhsa_kernarg_size 72
		.amdhsa_user_sgpr_count 2
		.amdhsa_user_sgpr_dispatch_ptr 0
		.amdhsa_user_sgpr_queue_ptr 0
		.amdhsa_user_sgpr_kernarg_segment_ptr 1
		.amdhsa_user_sgpr_dispatch_id 0
		.amdhsa_user_sgpr_kernarg_preload_length 0
		.amdhsa_user_sgpr_kernarg_preload_offset 0
		.amdhsa_user_sgpr_private_segment_size 0
		.amdhsa_uses_dynamic_stack 0
		.amdhsa_enable_private_segment 0
		.amdhsa_system_sgpr_workgroup_id_x 1
		.amdhsa_system_sgpr_workgroup_id_y 1
		.amdhsa_system_sgpr_workgroup_id_z 1
		.amdhsa_system_sgpr_workgroup_info 0
		.amdhsa_system_vgpr_workitem_id 0
		.amdhsa_next_free_vgpr 64
		.amdhsa_next_free_sgpr 24
		.amdhsa_accum_offset 64
		.amdhsa_reserve_vcc 1
		.amdhsa_float_round_mode_32 0
		.amdhsa_float_round_mode_16_64 0
		.amdhsa_float_denorm_mode_32 3
		.amdhsa_float_denorm_mode_16_64 3
		.amdhsa_dx10_clamp 1
		.amdhsa_ieee_mode 1
		.amdhsa_fp16_overflow 0
		.amdhsa_tg_split 0
		.amdhsa_exception_fp_ieee_invalid_op 0
		.amdhsa_exception_fp_denorm_src 0
		.amdhsa_exception_fp_ieee_div_zero 0
		.amdhsa_exception_fp_ieee_overflow 0
		.amdhsa_exception_fp_ieee_underflow 0
		.amdhsa_exception_fp_ieee_inexact 0
		.amdhsa_exception_int_div_zero 0
	.end_amdhsa_kernel
	.section	.text._ZL23ssm_conv_long_token_f32ILb1ELm128ELm15ELl32EEvPKfS1_S1_iiiiPfiiil,"axG",@progbits,_ZL23ssm_conv_long_token_f32ILb1ELm128ELm15ELl32EEvPKfS1_S1_iiiiPfiiil,comdat
.Lfunc_end9:
	.size	_ZL23ssm_conv_long_token_f32ILb1ELm128ELm15ELl32EEvPKfS1_S1_iiiiPfiiil, .Lfunc_end9-_ZL23ssm_conv_long_token_f32ILb1ELm128ELm15ELl32EEvPKfS1_S1_iiiiPfiiil
                                        ; -- End function
	.set _ZL23ssm_conv_long_token_f32ILb1ELm128ELm15ELl32EEvPKfS1_S1_iiiiPfiiil.num_vgpr, 64
	.set _ZL23ssm_conv_long_token_f32ILb1ELm128ELm15ELl32EEvPKfS1_S1_iiiiPfiiil.num_agpr, 0
	.set _ZL23ssm_conv_long_token_f32ILb1ELm128ELm15ELl32EEvPKfS1_S1_iiiiPfiiil.numbered_sgpr, 24
	.set _ZL23ssm_conv_long_token_f32ILb1ELm128ELm15ELl32EEvPKfS1_S1_iiiiPfiiil.num_named_barrier, 0
	.set _ZL23ssm_conv_long_token_f32ILb1ELm128ELm15ELl32EEvPKfS1_S1_iiiiPfiiil.private_seg_size, 0
	.set _ZL23ssm_conv_long_token_f32ILb1ELm128ELm15ELl32EEvPKfS1_S1_iiiiPfiiil.uses_vcc, 1
	.set _ZL23ssm_conv_long_token_f32ILb1ELm128ELm15ELl32EEvPKfS1_S1_iiiiPfiiil.uses_flat_scratch, 0
	.set _ZL23ssm_conv_long_token_f32ILb1ELm128ELm15ELl32EEvPKfS1_S1_iiiiPfiiil.has_dyn_sized_stack, 0
	.set _ZL23ssm_conv_long_token_f32ILb1ELm128ELm15ELl32EEvPKfS1_S1_iiiiPfiiil.has_recursion, 0
	.set _ZL23ssm_conv_long_token_f32ILb1ELm128ELm15ELl32EEvPKfS1_S1_iiiiPfiiil.has_indirect_call, 0
	.section	.AMDGPU.csdata,"",@progbits
; Kernel info:
; codeLenInByte = 7548
; TotalNumSgprs: 30
; NumVgprs: 64
; NumAgprs: 0
; TotalNumVgprs: 64
; ScratchSize: 0
; MemoryBound: 0
; FloatMode: 240
; IeeeMode: 1
; LDSByteSize: 0 bytes/workgroup (compile time only)
; SGPRBlocks: 3
; VGPRBlocks: 7
; NumSGPRsForWavesPerEU: 30
; NumVGPRsForWavesPerEU: 64
; AccumOffset: 64
; Occupancy: 8
; WaveLimiterHint : 0
; COMPUTE_PGM_RSRC2:SCRATCH_EN: 0
; COMPUTE_PGM_RSRC2:USER_SGPR: 2
; COMPUTE_PGM_RSRC2:TRAP_HANDLER: 0
; COMPUTE_PGM_RSRC2:TGID_X_EN: 1
; COMPUTE_PGM_RSRC2:TGID_Y_EN: 1
; COMPUTE_PGM_RSRC2:TGID_Z_EN: 1
; COMPUTE_PGM_RSRC2:TIDIG_COMP_CNT: 0
; COMPUTE_PGM_RSRC3_GFX90A:ACCUM_OFFSET: 15
; COMPUTE_PGM_RSRC3_GFX90A:TG_SPLIT: 0
	.section	.text._ZL12ssm_conv_f32ILb0ELm128ELm3EEvPKfS1_S1_iiiiPfiiil,"axG",@progbits,_ZL12ssm_conv_f32ILb0ELm128ELm3EEvPKfS1_S1_iiiiPfiiil,comdat
	.globl	_ZL12ssm_conv_f32ILb0ELm128ELm3EEvPKfS1_S1_iiiiPfiiil ; -- Begin function _ZL12ssm_conv_f32ILb0ELm128ELm3EEvPKfS1_S1_iiiiPfiiil
	.p2align	8
	.type	_ZL12ssm_conv_f32ILb0ELm128ELm3EEvPKfS1_S1_iiiiPfiiil,@function
_ZL12ssm_conv_f32ILb0ELm128ELm3EEvPKfS1_S1_iiiiPfiiil: ; @_ZL12ssm_conv_f32ILb0ELm128ELm3EEvPKfS1_S1_iiiiPfiiil
; %bb.0:
	s_load_dwordx4 s[8:11], s[0:1], 0x1c
	s_load_dwordx4 s[4:7], s[0:1], 0x0
	s_load_dwordx2 s[14:15], s[0:1], 0x10
	s_mov_b32 s12, s3
	s_ashr_i32 s13, s3, 31
	s_lshl_b64 s[16:17], s[12:13], 7
	s_waitcnt lgkmcnt(0)
	s_ashr_i32 s3, s10, 31
	s_mul_i32 s3, s16, s3
	s_mul_hi_u32 s11, s16, s10
	s_lshr_b64 s[12:13], s[12:13], 25
	s_add_i32 s3, s11, s3
	s_mul_i32 s11, s12, s10
	s_add_i32 s3, s3, s11
	s_mul_i32 s11, s16, s10
	s_add_u32 s12, s6, s11
	s_addc_u32 s13, s7, s3
	s_cmp_eq_u64 s[14:15], 0
	v_lshlrev_b32_e32 v10, 2, v0
	s_cbranch_scc1 .LBB10_2
; %bb.1:
	s_lshl_b64 s[6:7], s[16:17], 2
	s_add_u32 s6, s14, s6
	s_addc_u32 s7, s15, s7
	global_load_dword v9, v10, s[6:7]
	s_load_dwordx2 s[6:7], s[0:1], 0x40
	s_waitcnt lgkmcnt(0)
	v_cmp_lt_i64_e64 s[14:15], s[6:7], 1
	s_and_b64 vcc, exec, s[14:15]
	s_cbranch_vccz .LBB10_3
	s_branch .LBB10_6
.LBB10_2:
	v_mov_b32_e32 v9, 0
	s_load_dwordx2 s[6:7], s[0:1], 0x40
	s_waitcnt lgkmcnt(0)
	v_cmp_lt_i64_e64 s[14:15], s[6:7], 1
	s_and_b64 vcc, exec, s[14:15]
	s_cbranch_vccnz .LBB10_6
.LBB10_3:
	s_ashr_i32 s3, s10, 2
	v_mul_lo_u32 v2, s3, v0
	v_ashrrev_i32_e32 v3, 31, v2
	v_lshl_add_u64 v[2:3], v[2:3], 2, s[12:13]
	global_load_dwordx3 v[2:4], v[2:3], off
	s_load_dwordx2 s[10:11], s[0:1], 0x28
	s_load_dwordx4 s[12:15], s[0:1], 0x30
	s_ashr_i32 s1, s8, 31
	s_mul_i32 s0, s9, s2
	s_mul_hi_u32 s9, s16, s8
	s_mul_i32 s1, s16, s1
	s_add_i32 s1, s9, s1
	s_mul_i32 s9, s17, s8
	s_add_i32 s9, s1, s9
	s_waitcnt lgkmcnt(0)
	s_mul_i32 s1, s14, s2
	s_ashr_i32 s3, s0, 31
	s_ashr_i32 s2, s1, 31
	s_add_u32 s18, s10, s1
	s_addc_u32 s19, s11, s2
	s_ashr_i32 s14, s12, 31
	s_mul_hi_u32 s20, s16, s12
	s_mul_i32 s14, s16, s14
	s_add_i32 s14, s20, s14
	s_mul_i32 s17, s17, s12
	s_add_i32 s14, s14, s17
	s_mul_i32 s12, s16, s12
	s_mul_i32 s15, s16, s8
	s_add_u32 s16, s18, s12
	s_addc_u32 s17, s19, s14
	s_add_u32 s18, s4, s0
	s_addc_u32 s19, s5, s3
	;; [unrolled: 2-line block ×3, first 2 shown]
	s_ashr_i32 s8, s8, 2
	v_mul_lo_u32 v12, s8, v0
	v_ashrrev_i32_e32 v13, 31, v12
	v_lshl_add_u64 v[0:1], v[12:13], 2, s[18:19]
	global_load_dwordx3 v[6:8], v[0:1], off
	v_mov_b32_e32 v11, 0
	s_cmp_eq_u64 s[6:7], 1
	s_waitcnt vmcnt(1)
	v_mov_b32_e32 v0, v3
	v_mov_b32_e32 v1, v4
	s_waitcnt vmcnt(0)
	v_mov_b32_e32 v4, v7
	v_mov_b32_e32 v5, v8
	v_fma_f32 v3, v2, v6, 0
	v_pk_mul_f32 v[4:5], v[0:1], v[4:5]
	s_nop 0
	v_add_f32_e32 v3, v3, v4
	v_add_f32_e32 v3, v3, v5
	;; [unrolled: 1-line block ×3, first 2 shown]
	global_store_dword v10, v3, s[16:17]
	s_cbranch_scc1 .LBB10_6
; %bb.4:
	s_ashr_i32 s16, s13, 2
	s_ashr_i32 s17, s16, 31
	s_add_u32 s6, s6, -1
	s_addc_u32 s7, s7, -1
	s_add_u32 s0, s4, s0
	s_addc_u32 s3, s5, s3
	s_add_u32 s4, s0, s15
	s_addc_u32 s5, s3, s9
	v_lshl_add_u64 v[4:5], v[12:13], 2, s[4:5]
	s_lshl_b64 s[4:5], s[16:17], 2
	s_add_u32 s0, s12, s4
	s_addc_u32 s3, s14, s5
	s_add_u32 s1, s10, s1
	s_addc_u32 s2, s11, s2
	;; [unrolled: 2-line block ×3, first 2 shown]
	v_lshl_add_u64 v[4:5], v[4:5], 0, 12
	v_lshl_add_u64 v[10:11], s[0:1], 0, v[10:11]
	s_mov_b64 s[8:9], 1
	s_mov_b64 s[10:11], 3
	;; [unrolled: 1-line block ×4, first 2 shown]
.LBB10_5:                               ; =>This Inner Loop Header: Depth=1
	global_load_dword v3, v[4:5], off
	s_mul_i32 s3, s9, 0xaaaaaaab
	s_mul_hi_u32 s16, s8, 0xaaaaaaab
	s_mul_hi_u32 s2, s9, 0xaaaaaaab
	s_add_u32 s3, s3, s16
	s_mul_i32 s1, s8, 0xaaaaaaaa
	s_addc_u32 s2, s2, 0
	s_mul_hi_u32 s0, s8, 0xaaaaaaaa
	s_add_u32 s1, s1, s3
	s_addc_u32 s0, s0, 0
	s_add_u32 s0, s2, s0
	s_mul_i32 s18, s9, 0xaaaaaaaa
	s_addc_u32 s1, 0, 0
	s_mul_hi_u32 s17, s9, 0xaaaaaaaa
	s_add_u32 s0, s18, s0
	s_addc_u32 s1, s17, s1
	s_lshr_b64 s[0:1], s[0:1], 1
	s_mul_i32 s0, s0, 3
	s_mul_i32 s22, s11, 0xaaaaaaab
	s_mul_hi_u32 s23, s10, 0xaaaaaaab
	s_sub_i32 s16, s8, s0
	s_mul_hi_u32 s21, s11, 0xaaaaaaab
	s_add_u32 s0, s22, s23
	s_mul_i32 s20, s10, 0xaaaaaaaa
	s_addc_u32 s1, s21, 0
	s_mul_hi_u32 s19, s10, 0xaaaaaaaa
	s_add_u32 s0, s20, s0
	s_addc_u32 s0, s19, 0
	s_add_u32 s0, s1, s0
	s_mul_i32 s25, s11, 0xaaaaaaaa
	s_addc_u32 s1, 0, 0
	s_mul_hi_u32 s24, s11, 0xaaaaaaaa
	s_add_u32 s0, s25, s0
	s_addc_u32 s1, s24, s1
	s_lshr_b64 s[0:1], s[0:1], 1
	s_mul_i32 s0, s0, 3
	s_mul_i32 s29, s13, 0xaaaaaaab
	s_mul_hi_u32 s30, s12, 0xaaaaaaab
	s_sub_i32 s17, s10, s0
	;; [unrolled: 18-line block ×3, first 2 shown]
	s_mul_hi_u32 s36, s15, 0xaaaaaaab
	s_add_u32 s0, s37, s38
	s_mul_i32 s35, s14, 0xaaaaaaaa
	s_addc_u32 s1, s36, 0
	s_mul_hi_u32 s34, s14, 0xaaaaaaaa
	s_add_u32 s0, s35, s0
	s_addc_u32 s0, s34, 0
	s_add_u32 s0, s1, s0
	s_mul_i32 s40, s15, 0xaaaaaaaa
	s_addc_u32 s1, 0, 0
	s_mul_hi_u32 s39, s15, 0xaaaaaaaa
	s_add_u32 s0, s40, s0
	s_addc_u32 s1, s39, s1
	s_lshr_b64 s[0:1], s[0:1], 1
	s_mul_i32 s0, s0, 3
	s_sub_i32 s2, s14, s0
	s_cmp_eq_u32 s2, 2
	s_cselect_b64 vcc, -1, 0
	s_cmp_eq_u32 s2, 1
	s_cselect_b64 s[0:1], -1, 0
	s_cmp_eq_u32 s2, 0
	s_cselect_b64 s[2:3], -1, 0
	s_cmp_eq_u32 s16, 1
	s_waitcnt vmcnt(0)
	v_cndmask_b32_e32 v8, v8, v3, vcc
	v_cndmask_b32_e64 v7, v7, v3, s[0:1]
	v_cndmask_b32_e64 v6, v6, v3, s[2:3]
	s_cselect_b64 vcc, -1, 0
	s_cmp_eq_u32 s16, 2
	v_cndmask_b32_e32 v3, v6, v7, vcc
	s_cselect_b64 vcc, -1, 0
	s_add_u32 s8, s8, 1
	s_addc_u32 s9, s9, 0
	s_cmp_eq_u32 s18, 1
	v_cndmask_b32_e32 v3, v3, v8, vcc
	s_cselect_b64 vcc, -1, 0
	s_cmp_eq_u32 s18, 2
	v_cndmask_b32_e32 v12, v6, v7, vcc
	s_cselect_b64 vcc, -1, 0
	;; [unrolled: 3-line block ×4, first 2 shown]
	s_add_u32 s10, s10, 1
	s_addc_u32 s11, s11, 0
	s_add_u32 s6, s6, -1
	v_cndmask_b32_e32 v13, v13, v8, vcc
	s_addc_u32 s7, s7, -1
	v_fma_f32 v3, v2, v3, 0
	v_pk_mul_f32 v[12:13], v[0:1], v[12:13]
	s_add_u32 s12, s12, 1
	v_add_f32_e32 v3, v3, v12
	s_addc_u32 s13, s13, 0
	v_add_f32_e32 v3, v3, v13
	s_add_u32 s14, s14, 1
	v_add_f32_e32 v3, v9, v3
	s_addc_u32 s15, s15, 0
	v_lshl_add_u64 v[4:5], v[4:5], 0, 4
	global_store_dword v[10:11], v3, off
	s_cmp_eq_u64 s[6:7], 0
	v_lshl_add_u64 v[10:11], v[10:11], 0, s[4:5]
	s_cbranch_scc0 .LBB10_5
.LBB10_6:
	s_endpgm
	.section	.rodata,"a",@progbits
	.p2align	6, 0x0
	.amdhsa_kernel _ZL12ssm_conv_f32ILb0ELm128ELm3EEvPKfS1_S1_iiiiPfiiil
		.amdhsa_group_segment_fixed_size 0
		.amdhsa_private_segment_fixed_size 0
		.amdhsa_kernarg_size 72
		.amdhsa_user_sgpr_count 2
		.amdhsa_user_sgpr_dispatch_ptr 0
		.amdhsa_user_sgpr_queue_ptr 0
		.amdhsa_user_sgpr_kernarg_segment_ptr 1
		.amdhsa_user_sgpr_dispatch_id 0
		.amdhsa_user_sgpr_kernarg_preload_length 0
		.amdhsa_user_sgpr_kernarg_preload_offset 0
		.amdhsa_user_sgpr_private_segment_size 0
		.amdhsa_uses_dynamic_stack 0
		.amdhsa_enable_private_segment 0
		.amdhsa_system_sgpr_workgroup_id_x 1
		.amdhsa_system_sgpr_workgroup_id_y 1
		.amdhsa_system_sgpr_workgroup_id_z 0
		.amdhsa_system_sgpr_workgroup_info 0
		.amdhsa_system_vgpr_workitem_id 0
		.amdhsa_next_free_vgpr 14
		.amdhsa_next_free_sgpr 41
		.amdhsa_accum_offset 16
		.amdhsa_reserve_vcc 1
		.amdhsa_float_round_mode_32 0
		.amdhsa_float_round_mode_16_64 0
		.amdhsa_float_denorm_mode_32 3
		.amdhsa_float_denorm_mode_16_64 3
		.amdhsa_dx10_clamp 1
		.amdhsa_ieee_mode 1
		.amdhsa_fp16_overflow 0
		.amdhsa_tg_split 0
		.amdhsa_exception_fp_ieee_invalid_op 0
		.amdhsa_exception_fp_denorm_src 0
		.amdhsa_exception_fp_ieee_div_zero 0
		.amdhsa_exception_fp_ieee_overflow 0
		.amdhsa_exception_fp_ieee_underflow 0
		.amdhsa_exception_fp_ieee_inexact 0
		.amdhsa_exception_int_div_zero 0
	.end_amdhsa_kernel
	.section	.text._ZL12ssm_conv_f32ILb0ELm128ELm3EEvPKfS1_S1_iiiiPfiiil,"axG",@progbits,_ZL12ssm_conv_f32ILb0ELm128ELm3EEvPKfS1_S1_iiiiPfiiil,comdat
.Lfunc_end10:
	.size	_ZL12ssm_conv_f32ILb0ELm128ELm3EEvPKfS1_S1_iiiiPfiiil, .Lfunc_end10-_ZL12ssm_conv_f32ILb0ELm128ELm3EEvPKfS1_S1_iiiiPfiiil
                                        ; -- End function
	.set _ZL12ssm_conv_f32ILb0ELm128ELm3EEvPKfS1_S1_iiiiPfiiil.num_vgpr, 14
	.set _ZL12ssm_conv_f32ILb0ELm128ELm3EEvPKfS1_S1_iiiiPfiiil.num_agpr, 0
	.set _ZL12ssm_conv_f32ILb0ELm128ELm3EEvPKfS1_S1_iiiiPfiiil.numbered_sgpr, 41
	.set _ZL12ssm_conv_f32ILb0ELm128ELm3EEvPKfS1_S1_iiiiPfiiil.num_named_barrier, 0
	.set _ZL12ssm_conv_f32ILb0ELm128ELm3EEvPKfS1_S1_iiiiPfiiil.private_seg_size, 0
	.set _ZL12ssm_conv_f32ILb0ELm128ELm3EEvPKfS1_S1_iiiiPfiiil.uses_vcc, 1
	.set _ZL12ssm_conv_f32ILb0ELm128ELm3EEvPKfS1_S1_iiiiPfiiil.uses_flat_scratch, 0
	.set _ZL12ssm_conv_f32ILb0ELm128ELm3EEvPKfS1_S1_iiiiPfiiil.has_dyn_sized_stack, 0
	.set _ZL12ssm_conv_f32ILb0ELm128ELm3EEvPKfS1_S1_iiiiPfiiil.has_recursion, 0
	.set _ZL12ssm_conv_f32ILb0ELm128ELm3EEvPKfS1_S1_iiiiPfiiil.has_indirect_call, 0
	.section	.AMDGPU.csdata,"",@progbits
; Kernel info:
; codeLenInByte = 1172
; TotalNumSgprs: 47
; NumVgprs: 14
; NumAgprs: 0
; TotalNumVgprs: 14
; ScratchSize: 0
; MemoryBound: 0
; FloatMode: 240
; IeeeMode: 1
; LDSByteSize: 0 bytes/workgroup (compile time only)
; SGPRBlocks: 5
; VGPRBlocks: 1
; NumSGPRsForWavesPerEU: 47
; NumVGPRsForWavesPerEU: 14
; AccumOffset: 16
; Occupancy: 8
; WaveLimiterHint : 0
; COMPUTE_PGM_RSRC2:SCRATCH_EN: 0
; COMPUTE_PGM_RSRC2:USER_SGPR: 2
; COMPUTE_PGM_RSRC2:TRAP_HANDLER: 0
; COMPUTE_PGM_RSRC2:TGID_X_EN: 1
; COMPUTE_PGM_RSRC2:TGID_Y_EN: 1
; COMPUTE_PGM_RSRC2:TGID_Z_EN: 0
; COMPUTE_PGM_RSRC2:TIDIG_COMP_CNT: 0
; COMPUTE_PGM_RSRC3_GFX90A:ACCUM_OFFSET: 3
; COMPUTE_PGM_RSRC3_GFX90A:TG_SPLIT: 0
	.section	.text._ZL23ssm_conv_long_token_f32ILb0ELm128ELm3ELl32EEvPKfS1_S1_iiiiPfiiil,"axG",@progbits,_ZL23ssm_conv_long_token_f32ILb0ELm128ELm3ELl32EEvPKfS1_S1_iiiiPfiiil,comdat
	.globl	_ZL23ssm_conv_long_token_f32ILb0ELm128ELm3ELl32EEvPKfS1_S1_iiiiPfiiil ; -- Begin function _ZL23ssm_conv_long_token_f32ILb0ELm128ELm3ELl32EEvPKfS1_S1_iiiiPfiiil
	.p2align	8
	.type	_ZL23ssm_conv_long_token_f32ILb0ELm128ELm3ELl32EEvPKfS1_S1_iiiiPfiiil,@function
_ZL23ssm_conv_long_token_f32ILb0ELm128ELm3ELl32EEvPKfS1_S1_iiiiPfiiil: ; @_ZL23ssm_conv_long_token_f32ILb0ELm128ELm3ELl32EEvPKfS1_S1_iiiiPfiiil
; %bb.0:
	s_load_dwordx4 s[8:11], s[0:1], 0x18
	s_load_dwordx2 s[12:13], s[0:1], 0x0
	s_mov_b32 s6, s3
	v_mul_u32_u24_e32 v1, 0x788, v0
	v_lshrrev_b32_e32 v1, 16, v1
	s_waitcnt lgkmcnt(0)
	s_mul_i32 s3, s10, s2
	s_ashr_i32 s5, s3, 31
	s_add_u32 s3, s12, s3
	s_addc_u32 s5, s13, s5
	s_ashr_i32 s7, s6, 31
	s_lshl_b64 s[12:13], s[6:7], 7
	s_ashr_i32 s10, s9, 31
	s_mul_i32 s10, s12, s10
	s_mul_hi_u32 s14, s12, s9
	s_lshr_b64 s[6:7], s[6:7], 25
	s_add_i32 s10, s14, s10
	s_mul_i32 s6, s6, s9
	s_add_i32 s10, s10, s6
	s_mul_i32 s6, s12, s9
	s_add_u32 s3, s3, s6
	s_addc_u32 s6, s5, s10
	s_ashr_i32 s5, s4, 31
	s_lshl_b64 s[14:15], s[4:5], 5
	s_ashr_i32 s7, s8, 31
	s_mul_i32 s7, s14, s7
	s_mul_hi_u32 s10, s14, s8
	s_lshr_b64 s[4:5], s[4:5], 27
	s_add_i32 s7, s10, s7
	s_mul_i32 s4, s4, s8
	s_add_i32 s7, s7, s4
	s_mul_i32 s4, s14, s8
	s_add_u32 s16, s3, s4
	v_mul_lo_u16_e32 v2, 34, v1
	s_addc_u32 s17, s6, s7
	s_ashr_i32 s3, s9, 2
	v_sub_u16_e32 v2, v0, v2
	v_mad_u64_u32 v[4:5], s[4:5], s3, v1, v[2:3]
	v_ashrrev_i32_e32 v5, 31, v4
	v_lshl_add_u64 v[4:5], v[4:5], 2, s[16:17]
	global_load_dword v13, v[4:5], off
	v_or_b32_e32 v3, 0x80, v2
	v_mul_lo_u16_e32 v4, 0xf1, v3
	v_lshrrev_b16_e32 v4, 13, v4
	v_add_u32_e32 v22, v1, v4
	v_mul_lo_u16_e32 v4, 34, v4
	v_sub_u16_e32 v3, v3, v4
	v_and_b32_e32 v8, 0xff, v3
	v_or_b32_e32 v3, 0x80, v8
	v_mul_lo_u16_e32 v6, 0xf1, v3
	v_lshrrev_b16_e32 v6, 13, v6
	v_add_u32_e32 v23, v22, v6
	v_mul_lo_u16_e32 v6, 34, v6
	v_sub_u16_e32 v3, v3, v6
	v_and_b32_e32 v10, 0xff, v3
	v_or_b32_e32 v3, 0x80, v10
	v_mad_u64_u32 v[4:5], s[4:5], v22, s3, v[8:9]
	v_mul_lo_u16_e32 v9, 0xf1, v3
	v_lshrrev_b16_e32 v9, 13, v9
	v_add_u32_e32 v24, v23, v9
	v_mul_lo_u16_e32 v9, 34, v9
	v_sub_u16_e32 v3, v3, v9
	v_and_b32_e32 v12, 0xff, v3
	v_ashrrev_i32_e32 v5, 31, v4
	v_mad_u64_u32 v[6:7], s[4:5], v23, s3, v[10:11]
	v_lshl_add_u64 v[4:5], v[4:5], 2, s[16:17]
	v_ashrrev_i32_e32 v7, 31, v6
	v_or_b32_e32 v3, 0x80, v12
	v_lshl_add_u64 v[6:7], v[6:7], 2, s[16:17]
	v_mul_u32_u24_e32 v1, 0x88, v1
	v_lshlrev_b32_e32 v2, 2, v2
	v_add3_u32 v29, 0, v1, v2
	v_lshlrev_b32_e32 v8, 2, v8
	v_lshlrev_b32_e32 v10, 2, v10
	s_movk_i32 s7, 0x88
	s_movk_i32 s6, 0x80
	s_waitcnt vmcnt(0)
	v_mad_u64_u32 v[14:15], s[4:5], v24, s3, v[12:13]
	v_ashrrev_i32_e32 v15, 31, v14
	v_lshl_add_u64 v[14:15], v[14:15], 2, s[16:17]
	global_load_dword v25, v[4:5], off
	global_load_dword v26, v[6:7], off
	;; [unrolled: 1-line block ×3, first 2 shown]
	v_mul_lo_u16_e32 v4, 0xf1, v3
	v_lshrrev_b16_e32 v4, 13, v4
	v_add_u32_e32 v15, v24, v4
	v_mul_lo_u16_e32 v4, 34, v4
	v_sub_u16_e32 v3, v3, v4
	v_and_b32_e32 v14, 0xff, v3
	v_or_b32_e32 v2, 0x80, v14
	v_mul_lo_u16_e32 v1, 0xf1, v2
	v_lshrrev_b16_e32 v3, 13, v1
	v_mad_u64_u32 v[4:5], s[4:5], v15, s3, v[14:15]
	v_add_u32_e32 v1, v15, v3
	v_mul_lo_u16_e32 v3, 34, v3
	v_ashrrev_i32_e32 v5, 31, v4
	v_sub_u16_e32 v2, v2, v3
	v_lshl_add_u64 v[4:5], v[4:5], 2, s[16:17]
	v_and_b32_e32 v2, 0xff, v2
	global_load_dword v28, v[4:5], off
	v_mad_u64_u32 v[4:5], s[4:5], v1, s3, v[2:3]
	v_ashrrev_i32_e32 v5, 31, v4
	v_lshl_add_u64 v[16:17], v[4:5], 2, s[16:17]
	v_or_b32_e32 v4, 0x80, v2
	v_mul_lo_u16_e32 v3, 0xf1, v4
	v_lshrrev_b16_e32 v5, 13, v3
	v_add_u32_e32 v3, v1, v5
	v_mul_lo_u16_e32 v5, 34, v5
	v_sub_u16_e32 v4, v4, v5
	v_and_b32_e32 v4, 0xff, v4
	v_mad_u64_u32 v[6:7], s[4:5], v3, s3, v[4:5]
	v_ashrrev_i32_e32 v7, 31, v6
	v_lshl_add_u64 v[18:19], v[6:7], 2, s[16:17]
	v_or_b32_e32 v6, 0x80, v4
	v_mul_lo_u16_e32 v5, 0xf1, v6
	v_lshrrev_b16_e32 v7, 13, v5
	v_add_u32_e32 v5, v3, v7
	v_mul_lo_u16_e32 v7, 34, v7
	v_sub_u16_e32 v6, v6, v7
	v_and_b32_e32 v6, 0xff, v6
	v_mad_u64_u32 v[20:21], s[4:5], v5, s3, v[6:7]
	v_ashrrev_i32_e32 v21, 31, v20
	v_lshl_add_u64 v[20:21], v[20:21], 2, s[16:17]
	global_load_dword v11, v[16:17], off
	global_load_dword v9, v[18:19], off
	global_load_dword v7, v[20:21], off
	ds_write_b32 v29, v13
	v_mul_u32_u24_e32 v13, 0x88, v22
	v_add3_u32 v8, 0, v13, v8
	v_lshlrev_b32_e32 v2, 2, v2
	v_mul_u32_u24_e32 v1, 0x88, v1
	v_add3_u32 v1, 0, v1, v2
	v_lshlrev_b32_e32 v2, 2, v4
	s_waitcnt vmcnt(6)
	ds_write_b32 v8, v25
	v_mul_u32_u24_e32 v8, 0x88, v23
	v_add3_u32 v8, 0, v8, v10
	s_waitcnt vmcnt(5)
	ds_write_b32 v8, v26
	v_mul_u32_u24_e32 v8, 0x88, v24
	v_lshlrev_b32_e32 v10, 2, v12
	v_add3_u32 v8, 0, v8, v10
	s_waitcnt vmcnt(4)
	ds_write_b32 v8, v27
	v_mul_u32_u24_e32 v8, 0x88, v15
	v_lshlrev_b32_e32 v10, 2, v14
	v_add3_u32 v8, 0, v8, v10
	s_waitcnt vmcnt(3)
	ds_write_b32 v8, v28
	v_or_b32_e32 v8, 0x80, v6
	v_mul_lo_u16_e32 v10, 0xf1, v8
	v_lshrrev_b16_e32 v10, 13, v10
	v_add_u32_e32 v40, v5, v10
	v_mul_lo_u16_e32 v10, 34, v10
	v_sub_u16_e32 v8, v8, v10
	v_and_b32_e32 v8, 0xff, v8
	v_or_b32_e32 v10, 0x80, v8
	s_waitcnt vmcnt(1)
	v_mad_u64_u32 v[12:13], s[4:5], v40, s3, v[8:9]
	v_ashrrev_i32_e32 v13, 31, v12
	v_lshl_add_u64 v[24:25], v[12:13], 2, s[16:17]
	v_mul_lo_u16_e32 v12, 0xf1, v10
	v_lshrrev_b16_e32 v12, 13, v12
	v_add_u32_e32 v41, v40, v12
	v_mul_lo_u16_e32 v12, 34, v12
	v_sub_u16_e32 v10, v10, v12
	v_and_b32_e32 v10, 0xff, v10
	v_mad_u64_u32 v[12:13], s[4:5], v41, s3, v[10:11]
	v_ashrrev_i32_e32 v13, 31, v12
	v_lshl_add_u64 v[26:27], v[12:13], 2, s[16:17]
	v_or_b32_e32 v12, 0x80, v10
	v_mul_lo_u16_e32 v13, 0xf1, v12
	v_lshrrev_b16_e32 v13, 13, v13
	v_add_u32_e32 v42, v41, v13
	v_mul_lo_u16_e32 v13, 34, v13
	v_sub_u16_e32 v12, v12, v13
	v_and_b32_e32 v12, 0xff, v12
	v_mad_u64_u32 v[14:15], s[4:5], v42, s3, v[12:13]
	v_ashrrev_i32_e32 v15, 31, v14
	v_or_b32_e32 v13, 0x80, v12
	v_lshl_add_u64 v[28:29], v[14:15], 2, s[16:17]
	v_mul_lo_u16_e32 v14, 0xf1, v13
	v_lshrrev_b16_e32 v14, 13, v14
	v_add_u32_e32 v15, v42, v14
	v_mul_lo_u16_e32 v14, 34, v14
	v_sub_u16_e32 v13, v13, v14
	v_and_b32_e32 v14, 0xff, v13
	v_mad_u64_u32 v[16:17], s[4:5], v15, s3, v[14:15]
	v_ashrrev_i32_e32 v17, 31, v16
	v_or_b32_e32 v13, 0x80, v14
	v_lshl_add_u64 v[30:31], v[16:17], 2, s[16:17]
	;; [unrolled: 10-line block ×5, first 2 shown]
	v_mul_lo_u16_e32 v22, 0xf1, v13
	v_lshrrev_b16_e32 v22, 13, v22
	v_add_u32_e32 v23, v21, v22
	v_mul_lo_u16_e32 v22, 34, v22
	v_sub_u16_e32 v13, v13, v22
	v_and_b32_e32 v22, 0xff, v13
	v_mad_u64_u32 v[38:39], s[4:5], v23, s3, v[22:23]
	v_ashrrev_i32_e32 v39, 31, v38
	v_lshl_add_u64 v[38:39], v[38:39], 2, s[16:17]
	global_load_dword v13, v[24:25], off
	global_load_dword v43, v[26:27], off
	;; [unrolled: 1-line block ×8, first 2 shown]
	v_or_b32_e32 v24, 0x80, v22
	v_mul_lo_u16_e32 v25, 0xf1, v24
	v_lshrrev_b16_e32 v25, 13, v25
	v_add_u32_e32 v29, v23, v25
	v_mul_lo_u16_e32 v25, 34, v25
	v_sub_u16_e32 v24, v24, v25
	v_and_b32_e32 v24, 0xff, v24
	v_mad_u64_u32 v[26:27], s[4:5], v29, s3, v[24:25]
	v_or_b32_e32 v25, 0x80, v24
	v_mul_lo_u16_e32 v28, 0xf1, v25
	v_lshrrev_b16_e32 v28, 13, v28
	v_add_u32_e32 v33, v29, v28
	v_mul_lo_u16_e32 v28, 34, v28
	v_sub_u16_e32 v25, v25, v28
	v_and_b32_e32 v28, 0xff, v25
	v_or_b32_e32 v25, 0x80, v28
	v_mul_lo_u16_e32 v32, 0xf1, v25
	v_lshrrev_b16_e32 v32, 13, v32
	v_add_u32_e32 v36, v33, v32
	v_mul_lo_u16_e32 v32, 34, v32
	v_sub_u16_e32 v25, v25, v32
	v_and_b32_e32 v32, 0xff, v25
	v_ashrrev_i32_e32 v27, 31, v26
	v_mad_u64_u32 v[30:31], s[4:5], v33, s3, v[28:29]
	v_mad_u64_u32 v[34:35], s[4:5], v36, s3, v[32:33]
	v_lshl_add_u64 v[26:27], v[26:27], 2, s[16:17]
	v_ashrrev_i32_e32 v31, 31, v30
	v_ashrrev_i32_e32 v35, 31, v34
	v_lshl_add_u64 v[30:31], v[30:31], 2, s[16:17]
	v_lshl_add_u64 v[34:35], v[34:35], 2, s[16:17]
	global_load_dword v25, v[26:27], off
	global_load_dword v37, v[30:31], off
	;; [unrolled: 1-line block ×3, first 2 shown]
	v_or_b32_e32 v26, 0x80, v32
	v_mul_lo_u16_e32 v27, 0xf1, v26
	v_lshrrev_b16_e32 v27, 13, v27
	v_add_u32_e32 v34, v36, v27
	v_mul_lo_u16_e32 v27, 34, v27
	v_sub_u16_e32 v26, v26, v27
	v_and_b32_e32 v26, 0xff, v26
	v_mad_u64_u32 v[30:31], s[4:5], v34, s3, v[26:27]
	v_ashrrev_i32_e32 v31, 31, v30
	v_lshl_add_u64 v[30:31], v[30:31], 2, s[16:17]
	global_load_dword v27, v[30:31], off
	ds_write_b32 v1, v11
	v_mul_lo_u32 v1, v3, s7
	v_add3_u32 v1, 0, v1, v2
	ds_write_b32 v1, v9
	v_mul_lo_u32 v1, v5, s7
	v_lshlrev_b32_e32 v2, 2, v6
	v_add3_u32 v1, 0, v1, v2
	s_waitcnt vmcnt(12)
	ds_write_b32 v1, v7
	v_mul_lo_u32 v1, v40, s7
	v_lshlrev_b32_e32 v2, 2, v8
	v_add3_u32 v1, 0, v1, v2
	v_lshlrev_b32_e32 v2, 2, v10
	s_waitcnt vmcnt(11)
	ds_write_b32 v1, v13
	v_mul_lo_u32 v1, v41, s7
	v_add3_u32 v1, 0, v1, v2
	s_waitcnt vmcnt(10)
	ds_write_b32 v1, v43
	v_mul_lo_u32 v1, v42, s7
	v_lshlrev_b32_e32 v2, 2, v12
	v_add3_u32 v1, 0, v1, v2
	s_waitcnt vmcnt(9)
	ds_write_b32 v1, v44
	v_mul_lo_u32 v1, v15, s7
	v_lshlrev_b32_e32 v2, 2, v14
	;; [unrolled: 5-line block ×7, first 2 shown]
	v_add3_u32 v1, 0, v1, v2
	v_lshlrev_b32_e32 v2, 2, v28
	s_waitcnt vmcnt(3)
	ds_write_b32 v1, v25
	v_mul_lo_u32 v1, v33, s7
	v_add3_u32 v1, 0, v1, v2
	s_waitcnt vmcnt(2)
	ds_write_b32 v1, v37
	v_mul_lo_u32 v1, v36, s7
	v_lshlrev_b32_e32 v2, 2, v32
	v_add3_u32 v1, 0, v1, v2
	s_waitcnt vmcnt(1)
	ds_write_b32 v1, v38
	v_mul_lo_u32 v1, v34, s7
	v_lshlrev_b32_e32 v2, 2, v26
	v_add3_u32 v1, 0, v1, v2
	v_or_b32_e32 v2, 0x80, v26
	s_waitcnt vmcnt(0)
	ds_write_b32 v1, v27
	v_mul_lo_u16_e32 v1, 0xf1, v2
	v_lshrrev_b16_e32 v3, 13, v1
	v_add_u32_e32 v1, v34, v3
	v_mul_lo_u16_e32 v3, 34, v3
	v_sub_u16_e32 v2, v2, v3
	v_and_b32_e32 v2, 0xff, v2
	v_cmp_gt_u32_e32 vcc, s6, v1
	s_and_saveexec_b64 s[4:5], vcc
	s_cbranch_execz .LBB11_2
; %bb.1:
	v_mad_u64_u32 v[4:5], s[8:9], v1, s3, v[2:3]
	v_ashrrev_i32_e32 v5, 31, v4
	v_lshl_add_u64 v[4:5], v[4:5], 2, s[16:17]
	global_load_dword v3, v[4:5], off
	v_mul_lo_u32 v4, v1, s7
	v_lshlrev_b32_e32 v5, 2, v2
	v_add3_u32 v4, 0, v4, v5
	s_waitcnt vmcnt(0)
	ds_write_b32 v4, v3
.LBB11_2:
	s_or_b64 exec, exec, s[4:5]
	v_or_b32_e32 v2, 0x80, v2
	v_mul_lo_u16_e32 v3, 0xf1, v2
	v_lshrrev_b16_e32 v3, 13, v3
	v_add_u32_e32 v1, v1, v3
	v_mul_lo_u16_e32 v3, 34, v3
	v_sub_u16_e32 v2, v2, v3
	v_and_b32_e32 v2, 0xff, v2
	v_cmp_gt_u32_e32 vcc, s6, v1
	s_and_saveexec_b64 s[4:5], vcc
	s_cbranch_execz .LBB11_4
; %bb.3:
	v_mad_u64_u32 v[4:5], s[6:7], v1, s3, v[2:3]
	v_ashrrev_i32_e32 v5, 31, v4
	v_lshl_add_u64 v[4:5], v[4:5], 2, s[16:17]
	global_load_dword v3, v[4:5], off
	s_movk_i32 s6, 0x88
	v_mul_lo_u32 v4, v1, s6
	v_lshlrev_b32_e32 v5, 2, v2
	v_add3_u32 v4, 0, v4, v5
	s_waitcnt vmcnt(0)
	ds_write_b32 v4, v3
.LBB11_4:
	s_or_b64 exec, exec, s[4:5]
	v_or_b32_e32 v2, 0x80, v2
	v_mul_lo_u16_e32 v3, 0xf1, v2
	v_lshrrev_b16_e32 v3, 13, v3
	v_add_u32_e32 v1, v1, v3
	v_mul_lo_u16_e32 v3, 34, v3
	s_movk_i32 s6, 0x80
	v_sub_u16_e32 v2, v2, v3
	v_and_b32_e32 v2, 0xff, v2
	v_cmp_gt_u32_e32 vcc, s6, v1
	s_and_saveexec_b64 s[4:5], vcc
	s_cbranch_execz .LBB11_6
; %bb.5:
	v_mad_u64_u32 v[4:5], s[8:9], v1, s3, v[2:3]
	v_ashrrev_i32_e32 v5, 31, v4
	v_lshl_add_u64 v[4:5], v[4:5], 2, s[16:17]
	global_load_dword v3, v[4:5], off
	s_movk_i32 s7, 0x88
	v_mul_lo_u32 v4, v1, s7
	v_lshlrev_b32_e32 v5, 2, v2
	v_add3_u32 v4, 0, v4, v5
	s_waitcnt vmcnt(0)
	ds_write_b32 v4, v3
.LBB11_6:
	s_or_b64 exec, exec, s[4:5]
	v_or_b32_e32 v2, 0x80, v2
	v_mul_lo_u16_e32 v3, 0xf1, v2
	v_lshrrev_b16_e32 v3, 13, v3
	v_add_u32_e32 v1, v1, v3
	v_mul_lo_u16_e32 v3, 34, v3
	v_sub_u16_e32 v2, v2, v3
	v_and_b32_e32 v2, 0xff, v2
	v_cmp_gt_u32_e32 vcc, s6, v1
	s_and_saveexec_b64 s[4:5], vcc
	s_cbranch_execz .LBB11_8
; %bb.7:
	v_mad_u64_u32 v[4:5], s[6:7], v1, s3, v[2:3]
	v_ashrrev_i32_e32 v5, 31, v4
	v_lshl_add_u64 v[4:5], v[4:5], 2, s[16:17]
	global_load_dword v3, v[4:5], off
	s_movk_i32 s6, 0x88
	v_mul_lo_u32 v4, v1, s6
	v_lshlrev_b32_e32 v5, 2, v2
	v_add3_u32 v4, 0, v4, v5
	s_waitcnt vmcnt(0)
	ds_write_b32 v4, v3
.LBB11_8:
	s_or_b64 exec, exec, s[4:5]
	v_or_b32_e32 v2, 0x80, v2
	v_mul_lo_u16_e32 v3, 0xf1, v2
	v_lshrrev_b16_e32 v3, 13, v3
	v_add_u32_e32 v1, v1, v3
	v_mul_lo_u16_e32 v3, 34, v3
	s_movk_i32 s6, 0x80
	v_sub_u16_e32 v2, v2, v3
	v_and_b32_e32 v2, 0xff, v2
	v_cmp_gt_u32_e32 vcc, s6, v1
	s_and_saveexec_b64 s[4:5], vcc
	s_cbranch_execz .LBB11_10
; %bb.9:
	v_mad_u64_u32 v[4:5], s[8:9], v1, s3, v[2:3]
	v_ashrrev_i32_e32 v5, 31, v4
	v_lshl_add_u64 v[4:5], v[4:5], 2, s[16:17]
	global_load_dword v3, v[4:5], off
	s_movk_i32 s7, 0x88
	v_mul_lo_u32 v4, v1, s7
	v_lshlrev_b32_e32 v5, 2, v2
	v_add3_u32 v4, 0, v4, v5
	s_waitcnt vmcnt(0)
	ds_write_b32 v4, v3
.LBB11_10:
	;; [unrolled: 47-line block ×3, first 2 shown]
	s_or_b64 exec, exec, s[4:5]
	s_load_dwordx4 s[4:7], s[0:1], 0x8
	s_load_dwordx2 s[8:9], s[0:1], 0x28
	s_movk_i32 s10, 0x380
	v_cmp_gt_u32_e32 vcc, s10, v0
	s_and_saveexec_b64 s[18:19], vcc
	s_cbranch_execz .LBB11_35
; %bb.15:
	v_or_b32_e32 v2, 0x80, v2
	v_mul_lo_u16_e32 v3, 0xf1, v2
	v_lshrrev_b16_e32 v3, 13, v3
	v_add_u32_e32 v1, v1, v3
	v_mul_lo_u16_e32 v3, 34, v3
	s_movk_i32 s10, 0x80
	v_sub_u16_e32 v2, v2, v3
	v_and_b32_e32 v2, 0xff, v2
	v_cmp_gt_u32_e32 vcc, s10, v1
	s_and_saveexec_b64 s[20:21], vcc
	s_cbranch_execz .LBB11_17
; %bb.16:
	v_mad_u64_u32 v[4:5], s[22:23], v1, s3, v[2:3]
	v_ashrrev_i32_e32 v5, 31, v4
	v_lshl_add_u64 v[4:5], v[4:5], 2, s[16:17]
	global_load_dword v3, v[4:5], off
	s_movk_i32 s10, 0x88
	v_mul_lo_u32 v4, v1, s10
	v_lshlrev_b32_e32 v5, 2, v2
	v_add3_u32 v4, 0, v4, v5
	s_waitcnt vmcnt(0)
	ds_write_b32 v4, v3
.LBB11_17:
	s_or_b64 exec, exec, s[20:21]
	s_movk_i32 s10, 0x300
	v_cmp_gt_u32_e32 vcc, s10, v0
	s_and_b64 exec, exec, vcc
	s_cbranch_execz .LBB11_35
; %bb.18:
	v_or_b32_e32 v2, 0x80, v2
	v_mul_lo_u16_e32 v3, 0xf1, v2
	v_lshrrev_b16_e32 v3, 13, v3
	v_add_u32_e32 v1, v1, v3
	v_mul_lo_u16_e32 v3, 34, v3
	s_movk_i32 s10, 0x80
	v_sub_u16_e32 v2, v2, v3
	v_and_b32_e32 v2, 0xff, v2
	v_cmp_gt_u32_e32 vcc, s10, v1
	s_and_saveexec_b64 s[20:21], vcc
	s_cbranch_execz .LBB11_20
; %bb.19:
	v_mad_u64_u32 v[4:5], s[22:23], v1, s3, v[2:3]
	v_ashrrev_i32_e32 v5, 31, v4
	v_lshl_add_u64 v[4:5], v[4:5], 2, s[16:17]
	global_load_dword v3, v[4:5], off
	s_movk_i32 s10, 0x88
	v_mul_lo_u32 v4, v1, s10
	v_lshlrev_b32_e32 v5, 2, v2
	v_add3_u32 v4, 0, v4, v5
	s_waitcnt vmcnt(0)
	ds_write_b32 v4, v3
.LBB11_20:
	s_or_b64 exec, exec, s[20:21]
	s_movk_i32 s10, 0x280
	v_cmp_gt_u32_e32 vcc, s10, v0
	s_and_b64 exec, exec, vcc
	;; [unrolled: 29-line block ×5, first 2 shown]
	s_cbranch_execz .LBB11_35
; %bb.30:
	v_or_b32_e32 v2, 0x80, v2
	v_mul_lo_u16_e32 v3, 0xf1, v2
	v_lshrrev_b16_e32 v3, 13, v3
	v_add_u32_e32 v1, v1, v3
	v_mul_lo_u16_e32 v3, 34, v3
	s_movk_i32 s10, 0x80
	v_sub_u16_e32 v2, v2, v3
	v_and_b32_e32 v2, 0xff, v2
	v_cmp_gt_u32_e32 vcc, s10, v1
	s_and_saveexec_b64 s[20:21], vcc
	s_cbranch_execz .LBB11_32
; %bb.31:
	v_mad_u64_u32 v[4:5], s[22:23], v1, s3, v[2:3]
	v_ashrrev_i32_e32 v5, 31, v4
	v_lshl_add_u64 v[4:5], v[4:5], 2, s[16:17]
	global_load_dword v3, v[4:5], off
	s_movk_i32 s22, 0x88
	v_mul_lo_u32 v4, v1, s22
	v_lshlrev_b32_e32 v5, 2, v2
	v_add3_u32 v4, 0, v4, v5
	s_waitcnt vmcnt(0)
	ds_write_b32 v4, v3
.LBB11_32:
	s_or_b64 exec, exec, s[20:21]
	v_cmp_gt_u32_e32 vcc, s10, v0
	s_and_b64 exec, exec, vcc
	s_cbranch_execz .LBB11_35
; %bb.33:
	v_or_b32_e32 v2, 0x80, v2
	v_mul_lo_u16_e32 v3, 0xf1, v2
	v_lshrrev_b16_e32 v3, 13, v3
	v_add_u32_e32 v1, v1, v3
	v_cmp_gt_u32_e32 vcc, s10, v1
	s_and_b64 exec, exec, vcc
	s_cbranch_execz .LBB11_35
; %bb.34:
	v_mul_lo_u16_e32 v3, 34, v3
	v_sub_u16_e32 v2, v2, v3
	v_and_b32_e32 v2, 0xff, v2
	v_mad_u64_u32 v[4:5], s[20:21], v1, s3, v[2:3]
	v_ashrrev_i32_e32 v5, 31, v4
	v_lshl_add_u64 v[4:5], v[4:5], 2, s[16:17]
	global_load_dword v3, v[4:5], off
	s_movk_i32 s3, 0x88
	v_mul_lo_u32 v1, v1, s3
	v_lshlrev_b32_e32 v2, 2, v2
	v_add3_u32 v1, 0, v1, v2
	s_waitcnt vmcnt(0)
	ds_write_b32 v1, v3
.LBB11_35:
	s_or_b64 exec, exec, s[18:19]
	s_ashr_i32 s3, s11, 31
	s_mul_hi_u32 s10, s12, s11
	s_mul_i32 s3, s12, s3
	s_add_i32 s3, s10, s3
	s_mul_i32 s10, s13, s11
	s_add_i32 s3, s3, s10
	s_mul_i32 s10, s12, s11
	s_waitcnt lgkmcnt(0)
	s_add_u32 s4, s4, s10
	s_addc_u32 s5, s5, s3
	s_ashr_i32 s3, s11, 2
	v_mul_lo_u32 v2, s3, v0
	v_ashrrev_i32_e32 v3, 31, v2
	v_lshl_add_u64 v[2:3], v[2:3], 2, s[4:5]
	s_barrier
	global_load_dwordx3 v[2:4], v[2:3], off
	s_cmp_eq_u64 s[6:7], 0
	v_lshlrev_b32_e32 v10, 2, v0
	s_cbranch_scc1 .LBB11_37
; %bb.36:
	s_lshl_b64 s[4:5], s[12:13], 2
	s_add_u32 s4, s6, s4
	s_addc_u32 s5, s7, s5
	global_load_dword v6, v10, s[4:5]
	s_branch .LBB11_38
.LBB11_37:
	v_mov_b32_e32 v6, 0
.LBB11_38:
	s_load_dwordx2 s[4:5], s[0:1], 0x40
	s_waitcnt lgkmcnt(0)
	s_sub_u32 s6, s4, s14
	s_subb_u32 s7, s5, s15
	v_cmp_lt_i64_e64 s[4:5], s[6:7], 1
	s_and_b64 vcc, exec, s[4:5]
	s_cbranch_vccnz .LBB11_46
; %bb.39:
	s_load_dwordx4 s[16:19], s[0:1], 0x30
	v_cmp_lt_u64_e64 s[4:5], s[6:7], 32
	s_waitcnt vmcnt(0)
	v_mov_b32_e32 v8, v3
	v_mov_b32_e32 v9, v4
	v_mul_u32_u24_e32 v18, 0x88, v0
	s_waitcnt lgkmcnt(0)
	s_ashr_i32 s0, s17, 31
	s_mul_hi_u32 s1, s14, s17
	s_mul_i32 s0, s14, s0
	s_add_i32 s0, s1, s0
	s_mul_i32 s1, s15, s17
	s_add_i32 s15, s0, s1
	s_ashr_i32 s0, s16, 31
	s_mul_hi_u32 s1, s12, s16
	s_mul_i32 s0, s12, s0
	s_mul_i32 s10, s18, s2
	s_add_i32 s0, s1, s0
	s_mul_i32 s1, s13, s16
	s_ashr_i32 s11, s10, 31
	s_add_i32 s13, s0, s1
	s_ashr_i32 s0, s17, 2
	s_and_b64 s[4:5], s[4:5], exec
	s_cselect_b32 s5, s7, 0
	s_cselect_b32 s4, s6, 32
	s_cmp_eq_u64 s[6:7], 1
	s_cselect_b64 s[6:7], -1, 0
	s_cmp_lg_u32 s0, 1
	s_mul_i32 s14, s14, s17
	s_mul_i32 s12, s12, s16
	s_cselect_b64 s[16:17], -1, 0
	s_or_b64 s[6:7], s[6:7], s[16:17]
	v_mov_b32_e32 v11, 0
	s_mov_b32 s3, 0
	s_and_b64 vcc, exec, s[6:7]
	s_cbranch_vccnz .LBB11_43
; %bb.40:
	s_add_u32 s1, s8, s10
	s_addc_u32 s2, s9, s11
	v_add_u32_e32 v19, 0, v18
	s_add_u32 s1, s1, s14
	ds_read2_b32 v[16:17], v19 offset1:1
	s_addc_u32 s2, s2, s15
	s_add_u32 s6, s1, s12
	s_addc_u32 s7, s2, s13
	s_and_b32 s2, s4, 62
	v_lshl_add_u64 v[0:1], s[6:7], 0, v[10:11]
	v_mov_b32_e32 v12, v2
	v_mov_b32_e32 v13, v2
	;; [unrolled: 1-line block ×6, first 2 shown]
	s_mov_b64 s[6:7], s[2:3]
.LBB11_41:                              ; =>This Inner Loop Header: Depth=1
	s_waitcnt lgkmcnt(0)
	v_pk_fma_f32 v[20:21], v[12:13], v[16:17], 0 op_sel_hi:[1,1,0]
	ds_read2_b32 v[22:23], v19 offset0:1 offset1:2
	ds_read2_b32 v[16:17], v19 offset0:2 offset1:3
	s_add_u32 s6, s6, -2
	v_add_u32_e32 v3, 8, v19
	s_addc_u32 s7, s7, -1
	s_waitcnt lgkmcnt(1)
	v_pk_fma_f32 v[20:21], v[14:15], v[22:23], v[20:21]
	v_mov_b32_e32 v19, v3
	s_waitcnt lgkmcnt(0)
	v_pk_fma_f32 v[20:21], v[4:5], v[16:17], v[20:21]
	s_cmp_lg_u64 s[6:7], 0
	v_pk_add_f32 v[20:21], v[6:7], v[20:21]
	global_store_dwordx2 v[0:1], v[20:21], off
	v_lshl_add_u64 v[0:1], v[0:1], 0, 8
	s_cbranch_scc1 .LBB11_41
; %bb.42:
	s_cmp_lg_u64 s[4:5], s[2:3]
	s_cselect_b64 s[6:7], -1, 0
	s_and_b64 vcc, exec, s[6:7]
	s_cbranch_vccnz .LBB11_44
	s_branch .LBB11_46
.LBB11_43:
	s_mov_b64 s[2:3], 0
	s_cbranch_execz .LBB11_46
.LBB11_44:
	s_ashr_i32 s1, s0, 31
	s_sub_u32 s4, s4, s2
	s_subb_u32 s5, s5, s3
	s_add_u32 s3, s12, s14
	s_mul_hi_i32 s7, s2, s0
	s_mul_i32 s6, s2, s0
	s_addc_u32 s12, s13, s15
	s_lshl_b64 s[6:7], s[6:7], 2
	s_add_u32 s3, s3, s6
	s_addc_u32 s7, s12, s7
	s_add_u32 s6, s8, s10
	s_addc_u32 s8, s9, s11
	;; [unrolled: 2-line block ×3, first 2 shown]
	s_lshl_b32 s2, s2, 2
	s_add_i32 s2, s2, 0
	v_add_u32_e32 v3, s2, v18
	ds_read_b32 v0, v3
	v_mov_b32_e32 v11, 0
	v_lshl_add_u64 v[4:5], s[6:7], 0, v[10:11]
	s_lshl_b64 s[0:1], s[0:1], 2
.LBB11_45:                              ; =>This Inner Loop Header: Depth=1
	s_waitcnt lgkmcnt(0)
	v_fma_f32 v7, v2, v0, 0
	ds_read2_b32 v[0:1], v3 offset0:1 offset1:2
	v_add_u32_e32 v10, 4, v3
	v_mov_b32_e32 v3, v10
	s_add_u32 s4, s4, -1
	s_addc_u32 s5, s5, -1
	s_waitcnt lgkmcnt(0)
	v_pk_mul_f32 v[10:11], v[8:9], v[0:1]
	s_cmp_lg_u64 s[4:5], 0
	v_add_f32_e32 v1, v7, v10
	v_add_f32_e32 v1, v1, v11
	;; [unrolled: 1-line block ×3, first 2 shown]
	global_store_dword v[4:5], v1, off
	v_lshl_add_u64 v[4:5], v[4:5], 0, s[0:1]
	s_cbranch_scc1 .LBB11_45
.LBB11_46:
	s_endpgm
	.section	.rodata,"a",@progbits
	.p2align	6, 0x0
	.amdhsa_kernel _ZL23ssm_conv_long_token_f32ILb0ELm128ELm3ELl32EEvPKfS1_S1_iiiiPfiiil
		.amdhsa_group_segment_fixed_size 0
		.amdhsa_private_segment_fixed_size 0
		.amdhsa_kernarg_size 72
		.amdhsa_user_sgpr_count 2
		.amdhsa_user_sgpr_dispatch_ptr 0
		.amdhsa_user_sgpr_queue_ptr 0
		.amdhsa_user_sgpr_kernarg_segment_ptr 1
		.amdhsa_user_sgpr_dispatch_id 0
		.amdhsa_user_sgpr_kernarg_preload_length 0
		.amdhsa_user_sgpr_kernarg_preload_offset 0
		.amdhsa_user_sgpr_private_segment_size 0
		.amdhsa_uses_dynamic_stack 0
		.amdhsa_enable_private_segment 0
		.amdhsa_system_sgpr_workgroup_id_x 1
		.amdhsa_system_sgpr_workgroup_id_y 1
		.amdhsa_system_sgpr_workgroup_id_z 1
		.amdhsa_system_sgpr_workgroup_info 0
		.amdhsa_system_vgpr_workitem_id 0
		.amdhsa_next_free_vgpr 50
		.amdhsa_next_free_sgpr 24
		.amdhsa_accum_offset 52
		.amdhsa_reserve_vcc 1
		.amdhsa_float_round_mode_32 0
		.amdhsa_float_round_mode_16_64 0
		.amdhsa_float_denorm_mode_32 3
		.amdhsa_float_denorm_mode_16_64 3
		.amdhsa_dx10_clamp 1
		.amdhsa_ieee_mode 1
		.amdhsa_fp16_overflow 0
		.amdhsa_tg_split 0
		.amdhsa_exception_fp_ieee_invalid_op 0
		.amdhsa_exception_fp_denorm_src 0
		.amdhsa_exception_fp_ieee_div_zero 0
		.amdhsa_exception_fp_ieee_overflow 0
		.amdhsa_exception_fp_ieee_underflow 0
		.amdhsa_exception_fp_ieee_inexact 0
		.amdhsa_exception_int_div_zero 0
	.end_amdhsa_kernel
	.section	.text._ZL23ssm_conv_long_token_f32ILb0ELm128ELm3ELl32EEvPKfS1_S1_iiiiPfiiil,"axG",@progbits,_ZL23ssm_conv_long_token_f32ILb0ELm128ELm3ELl32EEvPKfS1_S1_iiiiPfiiil,comdat
.Lfunc_end11:
	.size	_ZL23ssm_conv_long_token_f32ILb0ELm128ELm3ELl32EEvPKfS1_S1_iiiiPfiiil, .Lfunc_end11-_ZL23ssm_conv_long_token_f32ILb0ELm128ELm3ELl32EEvPKfS1_S1_iiiiPfiiil
                                        ; -- End function
	.set _ZL23ssm_conv_long_token_f32ILb0ELm128ELm3ELl32EEvPKfS1_S1_iiiiPfiiil.num_vgpr, 50
	.set _ZL23ssm_conv_long_token_f32ILb0ELm128ELm3ELl32EEvPKfS1_S1_iiiiPfiiil.num_agpr, 0
	.set _ZL23ssm_conv_long_token_f32ILb0ELm128ELm3ELl32EEvPKfS1_S1_iiiiPfiiil.numbered_sgpr, 24
	.set _ZL23ssm_conv_long_token_f32ILb0ELm128ELm3ELl32EEvPKfS1_S1_iiiiPfiiil.num_named_barrier, 0
	.set _ZL23ssm_conv_long_token_f32ILb0ELm128ELm3ELl32EEvPKfS1_S1_iiiiPfiiil.private_seg_size, 0
	.set _ZL23ssm_conv_long_token_f32ILb0ELm128ELm3ELl32EEvPKfS1_S1_iiiiPfiiil.uses_vcc, 1
	.set _ZL23ssm_conv_long_token_f32ILb0ELm128ELm3ELl32EEvPKfS1_S1_iiiiPfiiil.uses_flat_scratch, 0
	.set _ZL23ssm_conv_long_token_f32ILb0ELm128ELm3ELl32EEvPKfS1_S1_iiiiPfiiil.has_dyn_sized_stack, 0
	.set _ZL23ssm_conv_long_token_f32ILb0ELm128ELm3ELl32EEvPKfS1_S1_iiiiPfiiil.has_recursion, 0
	.set _ZL23ssm_conv_long_token_f32ILb0ELm128ELm3ELl32EEvPKfS1_S1_iiiiPfiiil.has_indirect_call, 0
	.section	.AMDGPU.csdata,"",@progbits
; Kernel info:
; codeLenInByte = 4652
; TotalNumSgprs: 30
; NumVgprs: 50
; NumAgprs: 0
; TotalNumVgprs: 50
; ScratchSize: 0
; MemoryBound: 0
; FloatMode: 240
; IeeeMode: 1
; LDSByteSize: 0 bytes/workgroup (compile time only)
; SGPRBlocks: 3
; VGPRBlocks: 6
; NumSGPRsForWavesPerEU: 30
; NumVGPRsForWavesPerEU: 50
; AccumOffset: 52
; Occupancy: 8
; WaveLimiterHint : 0
; COMPUTE_PGM_RSRC2:SCRATCH_EN: 0
; COMPUTE_PGM_RSRC2:USER_SGPR: 2
; COMPUTE_PGM_RSRC2:TRAP_HANDLER: 0
; COMPUTE_PGM_RSRC2:TGID_X_EN: 1
; COMPUTE_PGM_RSRC2:TGID_Y_EN: 1
; COMPUTE_PGM_RSRC2:TGID_Z_EN: 1
; COMPUTE_PGM_RSRC2:TIDIG_COMP_CNT: 0
; COMPUTE_PGM_RSRC3_GFX90A:ACCUM_OFFSET: 12
; COMPUTE_PGM_RSRC3_GFX90A:TG_SPLIT: 0
	.section	.text._ZL12ssm_conv_f32ILb0ELm128ELm4EEvPKfS1_S1_iiiiPfiiil,"axG",@progbits,_ZL12ssm_conv_f32ILb0ELm128ELm4EEvPKfS1_S1_iiiiPfiiil,comdat
	.globl	_ZL12ssm_conv_f32ILb0ELm128ELm4EEvPKfS1_S1_iiiiPfiiil ; -- Begin function _ZL12ssm_conv_f32ILb0ELm128ELm4EEvPKfS1_S1_iiiiPfiiil
	.p2align	8
	.type	_ZL12ssm_conv_f32ILb0ELm128ELm4EEvPKfS1_S1_iiiiPfiiil,@function
_ZL12ssm_conv_f32ILb0ELm128ELm4EEvPKfS1_S1_iiiiPfiiil: ; @_ZL12ssm_conv_f32ILb0ELm128ELm4EEvPKfS1_S1_iiiiPfiiil
; %bb.0:
	s_load_dwordx4 s[8:11], s[0:1], 0x1c
	s_load_dwordx4 s[4:7], s[0:1], 0x0
	s_load_dwordx2 s[14:15], s[0:1], 0x10
	s_mov_b32 s12, s3
	s_ashr_i32 s13, s3, 31
	s_lshl_b64 s[16:17], s[12:13], 7
	s_waitcnt lgkmcnt(0)
	s_ashr_i32 s3, s10, 31
	s_mul_i32 s3, s16, s3
	s_mul_hi_u32 s11, s16, s10
	s_lshr_b64 s[12:13], s[12:13], 25
	s_add_i32 s3, s11, s3
	s_mul_i32 s11, s12, s10
	s_add_i32 s3, s3, s11
	s_mul_i32 s11, s16, s10
	s_add_u32 s12, s6, s11
	s_addc_u32 s13, s7, s3
	s_cmp_eq_u64 s[14:15], 0
	v_lshlrev_b32_e32 v10, 2, v0
	s_cbranch_scc1 .LBB12_2
; %bb.1:
	s_lshl_b64 s[6:7], s[16:17], 2
	s_add_u32 s6, s14, s6
	s_addc_u32 s7, s15, s7
	global_load_dword v12, v10, s[6:7]
	s_load_dwordx2 s[6:7], s[0:1], 0x40
	s_waitcnt lgkmcnt(0)
	v_cmp_lt_i64_e64 s[14:15], s[6:7], 1
	s_and_b64 vcc, exec, s[14:15]
	s_cbranch_vccz .LBB12_3
	s_branch .LBB12_6
.LBB12_2:
	v_mov_b32_e32 v12, 0
	s_load_dwordx2 s[6:7], s[0:1], 0x40
	s_waitcnt lgkmcnt(0)
	v_cmp_lt_i64_e64 s[14:15], s[6:7], 1
	s_and_b64 vcc, exec, s[14:15]
	s_cbranch_vccnz .LBB12_6
.LBB12_3:
	s_ashr_i32 s3, s10, 2
	v_mul_lo_u32 v2, s3, v0
	v_ashrrev_i32_e32 v3, 31, v2
	v_lshl_add_u64 v[2:3], v[2:3], 2, s[12:13]
	global_load_dwordx4 v[2:5], v[2:3], off
	s_load_dwordx2 s[10:11], s[0:1], 0x28
	s_load_dwordx4 s[12:15], s[0:1], 0x30
	s_ashr_i32 s1, s8, 31
	s_mul_i32 s0, s9, s2
	s_mul_hi_u32 s9, s16, s8
	s_mul_i32 s1, s16, s1
	s_add_i32 s1, s9, s1
	s_mul_i32 s9, s17, s8
	s_add_i32 s9, s1, s9
	s_waitcnt lgkmcnt(0)
	s_mul_i32 s1, s14, s2
	s_ashr_i32 s3, s0, 31
	s_ashr_i32 s2, s1, 31
	s_add_u32 s18, s10, s1
	s_addc_u32 s19, s11, s2
	s_ashr_i32 s14, s12, 31
	s_mul_hi_u32 s20, s16, s12
	s_mul_i32 s14, s16, s14
	s_add_i32 s14, s20, s14
	s_mul_i32 s17, s17, s12
	s_add_i32 s14, s14, s17
	s_mul_i32 s12, s16, s12
	s_mul_i32 s15, s16, s8
	s_add_u32 s16, s18, s12
	s_addc_u32 s17, s19, s14
	s_add_u32 s18, s4, s0
	s_addc_u32 s19, s5, s3
	;; [unrolled: 2-line block ×3, first 2 shown]
	s_ashr_i32 s8, s8, 2
	v_mul_lo_u32 v0, s8, v0
	v_ashrrev_i32_e32 v1, 31, v0
	v_lshl_add_u64 v[6:7], v[0:1], 2, s[18:19]
	global_load_dwordx4 v[6:9], v[6:7], off
	s_cmp_eq_u64 s[6:7], 1
	s_waitcnt vmcnt(0)
	v_pk_mul_f32 v[14:15], v[2:3], v[6:7]
	s_nop 0
	v_add_f32_e32 v11, 0, v14
	v_pk_mul_f32 v[16:17], v[4:5], v[8:9]
	v_add_f32_e32 v11, v11, v15
	v_add_f32_e32 v11, v11, v16
	;; [unrolled: 1-line block ×4, first 2 shown]
	global_store_dword v10, v11, s[16:17]
	s_cbranch_scc1 .LBB12_6
; %bb.4:
	s_ashr_i32 s16, s13, 2
	s_ashr_i32 s17, s16, 31
	s_add_u32 s6, s6, -1
	s_addc_u32 s7, s7, -1
	s_add_u32 s0, s4, s0
	s_addc_u32 s3, s5, s3
	s_add_u32 s4, s0, s15
	s_addc_u32 s5, s3, s9
	s_lshl_b64 s[8:9], s[16:17], 2
	s_add_u32 s0, s12, s8
	s_addc_u32 s3, s14, s9
	s_add_u32 s1, s10, s1
	s_addc_u32 s2, s11, s2
	s_add_u32 s0, s1, s0
	v_mov_b32_e32 v11, 0
	v_lshl_add_u64 v[0:1], v[0:1], 2, s[4:5]
	s_addc_u32 s1, s2, s3
	v_lshl_add_u64 v[0:1], v[0:1], 0, 16
	v_lshl_add_u64 v[10:11], s[0:1], 0, v[10:11]
	s_mov_b64 s[10:11], 0
.LBB12_5:                               ; =>This Inner Loop Header: Depth=1
	global_load_dword v15, v[0:1], off
	s_add_u32 s12, s10, 1
	s_addc_u32 s13, s11, 0
	s_add_i32 s0, s10, 4
	s_and_b32 s4, s0, 3
	s_cmp_eq_u32 s4, 3
	s_cselect_b64 vcc, -1, 0
	s_cmp_eq_u32 s4, 2
	s_cselect_b64 s[0:1], -1, 0
	s_cmp_eq_u32 s4, 1
	s_cselect_b64 s[2:3], -1, 0
	;; [unrolled: 2-line block ×3, first 2 shown]
	s_and_b32 s14, s12, 3
	s_cmp_eq_u32 s14, 1
	v_lshl_add_u64 v[0:1], v[0:1], 0, 4
	s_waitcnt vmcnt(0)
	v_cndmask_b32_e32 v9, v9, v15, vcc
	v_cndmask_b32_e64 v7, v7, v15, s[2:3]
	v_cndmask_b32_e64 v6, v6, v15, s[4:5]
	s_cselect_b64 vcc, -1, 0
	s_cmp_eq_u32 s14, 2
	v_cndmask_b32_e64 v8, v8, v15, s[0:1]
	v_cndmask_b32_e32 v13, v6, v7, vcc
	s_cselect_b64 vcc, -1, 0
	s_cmp_eq_u32 s14, 3
	v_cndmask_b32_e32 v13, v13, v8, vcc
	s_cselect_b64 vcc, -1, 0
	s_add_i32 s0, s10, 2
	s_and_b32 s0, s0, 3
	s_cmp_eq_u32 s0, 1
	v_cndmask_b32_e32 v16, v13, v9, vcc
	s_cselect_b64 vcc, -1, 0
	s_cmp_eq_u32 s0, 2
	v_cndmask_b32_e32 v13, v6, v7, vcc
	s_cselect_b64 vcc, -1, 0
	;; [unrolled: 3-line block ×3, first 2 shown]
	s_xor_b32 s0, s14, 2
	s_cmp_eq_u32 s0, 1
	v_cndmask_b32_e32 v17, v13, v9, vcc
	s_cselect_b64 vcc, -1, 0
	s_cmp_eq_u32 s0, 2
	v_cndmask_b32_e32 v14, v6, v7, vcc
	s_cselect_b64 vcc, -1, 0
	s_cmp_eq_u32 s0, 3
	v_pk_mul_f32 v[16:17], v[2:3], v[16:17]
	v_cndmask_b32_e32 v14, v14, v8, vcc
	s_cselect_b64 vcc, -1, 0
	v_add_f32_e32 v13, 0, v16
	v_cndmask_b32_e32 v14, v14, v9, vcc
	v_add_f32_e32 v13, v13, v17
	v_pk_mul_f32 v[14:15], v[4:5], v[14:15]
	s_mov_b64 s[10:11], s[12:13]
	v_add_f32_e32 v13, v13, v14
	v_add_f32_e32 v13, v13, v15
	;; [unrolled: 1-line block ×3, first 2 shown]
	s_cmp_eq_u64 s[6:7], s[12:13]
	global_store_dword v[10:11], v13, off
	v_lshl_add_u64 v[10:11], v[10:11], 0, s[8:9]
	s_cbranch_scc0 .LBB12_5
.LBB12_6:
	s_endpgm
	.section	.rodata,"a",@progbits
	.p2align	6, 0x0
	.amdhsa_kernel _ZL12ssm_conv_f32ILb0ELm128ELm4EEvPKfS1_S1_iiiiPfiiil
		.amdhsa_group_segment_fixed_size 0
		.amdhsa_private_segment_fixed_size 0
		.amdhsa_kernarg_size 72
		.amdhsa_user_sgpr_count 2
		.amdhsa_user_sgpr_dispatch_ptr 0
		.amdhsa_user_sgpr_queue_ptr 0
		.amdhsa_user_sgpr_kernarg_segment_ptr 1
		.amdhsa_user_sgpr_dispatch_id 0
		.amdhsa_user_sgpr_kernarg_preload_length 0
		.amdhsa_user_sgpr_kernarg_preload_offset 0
		.amdhsa_user_sgpr_private_segment_size 0
		.amdhsa_uses_dynamic_stack 0
		.amdhsa_enable_private_segment 0
		.amdhsa_system_sgpr_workgroup_id_x 1
		.amdhsa_system_sgpr_workgroup_id_y 1
		.amdhsa_system_sgpr_workgroup_id_z 0
		.amdhsa_system_sgpr_workgroup_info 0
		.amdhsa_system_vgpr_workitem_id 0
		.amdhsa_next_free_vgpr 18
		.amdhsa_next_free_sgpr 21
		.amdhsa_accum_offset 20
		.amdhsa_reserve_vcc 1
		.amdhsa_float_round_mode_32 0
		.amdhsa_float_round_mode_16_64 0
		.amdhsa_float_denorm_mode_32 3
		.amdhsa_float_denorm_mode_16_64 3
		.amdhsa_dx10_clamp 1
		.amdhsa_ieee_mode 1
		.amdhsa_fp16_overflow 0
		.amdhsa_tg_split 0
		.amdhsa_exception_fp_ieee_invalid_op 0
		.amdhsa_exception_fp_denorm_src 0
		.amdhsa_exception_fp_ieee_div_zero 0
		.amdhsa_exception_fp_ieee_overflow 0
		.amdhsa_exception_fp_ieee_underflow 0
		.amdhsa_exception_fp_ieee_inexact 0
		.amdhsa_exception_int_div_zero 0
	.end_amdhsa_kernel
	.section	.text._ZL12ssm_conv_f32ILb0ELm128ELm4EEvPKfS1_S1_iiiiPfiiil,"axG",@progbits,_ZL12ssm_conv_f32ILb0ELm128ELm4EEvPKfS1_S1_iiiiPfiiil,comdat
.Lfunc_end12:
	.size	_ZL12ssm_conv_f32ILb0ELm128ELm4EEvPKfS1_S1_iiiiPfiiil, .Lfunc_end12-_ZL12ssm_conv_f32ILb0ELm128ELm4EEvPKfS1_S1_iiiiPfiiil
                                        ; -- End function
	.set _ZL12ssm_conv_f32ILb0ELm128ELm4EEvPKfS1_S1_iiiiPfiiil.num_vgpr, 18
	.set _ZL12ssm_conv_f32ILb0ELm128ELm4EEvPKfS1_S1_iiiiPfiiil.num_agpr, 0
	.set _ZL12ssm_conv_f32ILb0ELm128ELm4EEvPKfS1_S1_iiiiPfiiil.numbered_sgpr, 21
	.set _ZL12ssm_conv_f32ILb0ELm128ELm4EEvPKfS1_S1_iiiiPfiiil.num_named_barrier, 0
	.set _ZL12ssm_conv_f32ILb0ELm128ELm4EEvPKfS1_S1_iiiiPfiiil.private_seg_size, 0
	.set _ZL12ssm_conv_f32ILb0ELm128ELm4EEvPKfS1_S1_iiiiPfiiil.uses_vcc, 1
	.set _ZL12ssm_conv_f32ILb0ELm128ELm4EEvPKfS1_S1_iiiiPfiiil.uses_flat_scratch, 0
	.set _ZL12ssm_conv_f32ILb0ELm128ELm4EEvPKfS1_S1_iiiiPfiiil.has_dyn_sized_stack, 0
	.set _ZL12ssm_conv_f32ILb0ELm128ELm4EEvPKfS1_S1_iiiiPfiiil.has_recursion, 0
	.set _ZL12ssm_conv_f32ILb0ELm128ELm4EEvPKfS1_S1_iiiiPfiiil.has_indirect_call, 0
	.section	.AMDGPU.csdata,"",@progbits
; Kernel info:
; codeLenInByte = 804
; TotalNumSgprs: 27
; NumVgprs: 18
; NumAgprs: 0
; TotalNumVgprs: 18
; ScratchSize: 0
; MemoryBound: 0
; FloatMode: 240
; IeeeMode: 1
; LDSByteSize: 0 bytes/workgroup (compile time only)
; SGPRBlocks: 3
; VGPRBlocks: 2
; NumSGPRsForWavesPerEU: 27
; NumVGPRsForWavesPerEU: 18
; AccumOffset: 20
; Occupancy: 8
; WaveLimiterHint : 0
; COMPUTE_PGM_RSRC2:SCRATCH_EN: 0
; COMPUTE_PGM_RSRC2:USER_SGPR: 2
; COMPUTE_PGM_RSRC2:TRAP_HANDLER: 0
; COMPUTE_PGM_RSRC2:TGID_X_EN: 1
; COMPUTE_PGM_RSRC2:TGID_Y_EN: 1
; COMPUTE_PGM_RSRC2:TGID_Z_EN: 0
; COMPUTE_PGM_RSRC2:TIDIG_COMP_CNT: 0
; COMPUTE_PGM_RSRC3_GFX90A:ACCUM_OFFSET: 4
; COMPUTE_PGM_RSRC3_GFX90A:TG_SPLIT: 0
	.section	.text._ZL23ssm_conv_long_token_f32ILb0ELm128ELm4ELl32EEvPKfS1_S1_iiiiPfiiil,"axG",@progbits,_ZL23ssm_conv_long_token_f32ILb0ELm128ELm4ELl32EEvPKfS1_S1_iiiiPfiiil,comdat
	.globl	_ZL23ssm_conv_long_token_f32ILb0ELm128ELm4ELl32EEvPKfS1_S1_iiiiPfiiil ; -- Begin function _ZL23ssm_conv_long_token_f32ILb0ELm128ELm4ELl32EEvPKfS1_S1_iiiiPfiiil
	.p2align	8
	.type	_ZL23ssm_conv_long_token_f32ILb0ELm128ELm4ELl32EEvPKfS1_S1_iiiiPfiiil,@function
_ZL23ssm_conv_long_token_f32ILb0ELm128ELm4ELl32EEvPKfS1_S1_iiiiPfiiil: ; @_ZL23ssm_conv_long_token_f32ILb0ELm128ELm4ELl32EEvPKfS1_S1_iiiiPfiiil
; %bb.0:
	s_load_dwordx4 s[8:11], s[0:1], 0x18
	s_load_dwordx2 s[12:13], s[0:1], 0x0
	s_mov_b32 s6, s3
	v_mul_u32_u24_e32 v1, 0x751, v0
	v_lshrrev_b32_e32 v1, 16, v1
	s_waitcnt lgkmcnt(0)
	s_mul_i32 s3, s10, s2
	s_ashr_i32 s5, s3, 31
	s_add_u32 s3, s12, s3
	s_addc_u32 s5, s13, s5
	s_ashr_i32 s7, s6, 31
	s_lshl_b64 s[12:13], s[6:7], 7
	s_ashr_i32 s10, s9, 31
	s_mul_i32 s10, s12, s10
	s_mul_hi_u32 s14, s12, s9
	s_lshr_b64 s[6:7], s[6:7], 25
	s_add_i32 s10, s14, s10
	s_mul_i32 s6, s6, s9
	s_add_i32 s10, s10, s6
	s_mul_i32 s6, s12, s9
	s_add_u32 s3, s3, s6
	s_addc_u32 s6, s5, s10
	s_ashr_i32 s5, s4, 31
	s_lshl_b64 s[14:15], s[4:5], 5
	s_ashr_i32 s7, s8, 31
	s_mul_i32 s7, s14, s7
	s_mul_hi_u32 s10, s14, s8
	s_lshr_b64 s[4:5], s[4:5], 27
	s_add_i32 s7, s10, s7
	s_mul_i32 s4, s4, s8
	s_add_i32 s7, s7, s4
	s_mul_i32 s4, s14, s8
	s_add_u32 s16, s3, s4
	v_mul_lo_u16_e32 v2, 35, v1
	s_addc_u32 s17, s6, s7
	s_ashr_i32 s3, s9, 2
	v_sub_u16_e32 v2, v0, v2
	v_mad_u64_u32 v[4:5], s[4:5], s3, v1, v[2:3]
	v_ashrrev_i32_e32 v5, 31, v4
	v_lshl_add_u64 v[4:5], v[4:5], 2, s[16:17]
	global_load_dword v13, v[4:5], off
	v_or_b32_e32 v3, 0x80, v2
	v_mul_lo_u16_e32 v4, 0xeb, v3
	v_lshrrev_b16_e32 v4, 13, v4
	v_add_u32_e32 v22, v1, v4
	v_mul_lo_u16_e32 v4, 35, v4
	v_sub_u16_e32 v3, v3, v4
	v_and_b32_e32 v8, 0xff, v3
	v_or_b32_e32 v3, 0x80, v8
	v_mul_lo_u16_e32 v6, 0xeb, v3
	v_lshrrev_b16_e32 v6, 13, v6
	v_add_u32_e32 v23, v22, v6
	v_mul_lo_u16_e32 v6, 35, v6
	v_sub_u16_e32 v3, v3, v6
	v_and_b32_e32 v10, 0xff, v3
	v_or_b32_e32 v3, 0x80, v10
	v_mad_u64_u32 v[4:5], s[4:5], v22, s3, v[8:9]
	v_mul_lo_u16_e32 v9, 0xeb, v3
	v_lshrrev_b16_e32 v9, 13, v9
	v_add_u32_e32 v24, v23, v9
	v_mul_lo_u16_e32 v9, 35, v9
	v_sub_u16_e32 v3, v3, v9
	v_and_b32_e32 v12, 0xff, v3
	v_ashrrev_i32_e32 v5, 31, v4
	v_mad_u64_u32 v[6:7], s[4:5], v23, s3, v[10:11]
	v_lshl_add_u64 v[4:5], v[4:5], 2, s[16:17]
	v_ashrrev_i32_e32 v7, 31, v6
	v_or_b32_e32 v3, 0x80, v12
	v_lshl_add_u64 v[6:7], v[6:7], 2, s[16:17]
	v_mul_u32_u24_e32 v1, 0x8c, v1
	v_lshlrev_b32_e32 v2, 2, v2
	v_add3_u32 v29, 0, v1, v2
	v_lshlrev_b32_e32 v8, 2, v8
	v_lshlrev_b32_e32 v10, 2, v10
	s_movk_i32 s7, 0x8c
	s_movk_i32 s6, 0x80
	s_waitcnt vmcnt(0)
	v_mad_u64_u32 v[14:15], s[4:5], v24, s3, v[12:13]
	v_ashrrev_i32_e32 v15, 31, v14
	v_lshl_add_u64 v[14:15], v[14:15], 2, s[16:17]
	global_load_dword v25, v[4:5], off
	global_load_dword v26, v[6:7], off
	;; [unrolled: 1-line block ×3, first 2 shown]
	v_mul_lo_u16_e32 v4, 0xeb, v3
	v_lshrrev_b16_e32 v4, 13, v4
	v_add_u32_e32 v15, v24, v4
	v_mul_lo_u16_e32 v4, 35, v4
	v_sub_u16_e32 v3, v3, v4
	v_and_b32_e32 v14, 0xff, v3
	v_or_b32_e32 v2, 0x80, v14
	v_mul_lo_u16_e32 v1, 0xeb, v2
	v_lshrrev_b16_e32 v3, 13, v1
	v_mad_u64_u32 v[4:5], s[4:5], v15, s3, v[14:15]
	v_add_u32_e32 v1, v15, v3
	v_mul_lo_u16_e32 v3, 35, v3
	v_ashrrev_i32_e32 v5, 31, v4
	v_sub_u16_e32 v2, v2, v3
	v_lshl_add_u64 v[4:5], v[4:5], 2, s[16:17]
	v_and_b32_e32 v2, 0xff, v2
	global_load_dword v28, v[4:5], off
	v_mad_u64_u32 v[4:5], s[4:5], v1, s3, v[2:3]
	v_ashrrev_i32_e32 v5, 31, v4
	v_lshl_add_u64 v[16:17], v[4:5], 2, s[16:17]
	v_or_b32_e32 v4, 0x80, v2
	v_mul_lo_u16_e32 v3, 0xeb, v4
	v_lshrrev_b16_e32 v5, 13, v3
	v_add_u32_e32 v3, v1, v5
	v_mul_lo_u16_e32 v5, 35, v5
	v_sub_u16_e32 v4, v4, v5
	v_and_b32_e32 v4, 0xff, v4
	v_mad_u64_u32 v[6:7], s[4:5], v3, s3, v[4:5]
	v_ashrrev_i32_e32 v7, 31, v6
	v_lshl_add_u64 v[18:19], v[6:7], 2, s[16:17]
	v_or_b32_e32 v6, 0x80, v4
	v_mul_lo_u16_e32 v5, 0xeb, v6
	v_lshrrev_b16_e32 v7, 13, v5
	v_add_u32_e32 v5, v3, v7
	v_mul_lo_u16_e32 v7, 35, v7
	v_sub_u16_e32 v6, v6, v7
	v_and_b32_e32 v6, 0xff, v6
	v_mad_u64_u32 v[20:21], s[4:5], v5, s3, v[6:7]
	v_ashrrev_i32_e32 v21, 31, v20
	v_lshl_add_u64 v[20:21], v[20:21], 2, s[16:17]
	global_load_dword v11, v[16:17], off
	global_load_dword v9, v[18:19], off
	;; [unrolled: 1-line block ×3, first 2 shown]
	ds_write_b32 v29, v13
	v_mul_u32_u24_e32 v13, 0x8c, v22
	v_add3_u32 v8, 0, v13, v8
	v_lshlrev_b32_e32 v2, 2, v2
	v_mul_u32_u24_e32 v1, 0x8c, v1
	v_add3_u32 v1, 0, v1, v2
	v_lshlrev_b32_e32 v2, 2, v4
	s_waitcnt vmcnt(6)
	ds_write_b32 v8, v25
	v_mul_u32_u24_e32 v8, 0x8c, v23
	v_add3_u32 v8, 0, v8, v10
	s_waitcnt vmcnt(5)
	ds_write_b32 v8, v26
	v_mul_u32_u24_e32 v8, 0x8c, v24
	v_lshlrev_b32_e32 v10, 2, v12
	v_add3_u32 v8, 0, v8, v10
	s_waitcnt vmcnt(4)
	ds_write_b32 v8, v27
	v_mul_u32_u24_e32 v8, 0x8c, v15
	v_lshlrev_b32_e32 v10, 2, v14
	v_add3_u32 v8, 0, v8, v10
	s_waitcnt vmcnt(3)
	ds_write_b32 v8, v28
	v_or_b32_e32 v8, 0x80, v6
	v_mul_lo_u16_e32 v10, 0xeb, v8
	v_lshrrev_b16_e32 v10, 13, v10
	v_add_u32_e32 v40, v5, v10
	v_mul_lo_u16_e32 v10, 35, v10
	v_sub_u16_e32 v8, v8, v10
	v_and_b32_e32 v8, 0xff, v8
	v_or_b32_e32 v10, 0x80, v8
	s_waitcnt vmcnt(1)
	v_mad_u64_u32 v[12:13], s[4:5], v40, s3, v[8:9]
	v_ashrrev_i32_e32 v13, 31, v12
	v_lshl_add_u64 v[24:25], v[12:13], 2, s[16:17]
	v_mul_lo_u16_e32 v12, 0xeb, v10
	v_lshrrev_b16_e32 v12, 13, v12
	v_add_u32_e32 v41, v40, v12
	v_mul_lo_u16_e32 v12, 35, v12
	v_sub_u16_e32 v10, v10, v12
	v_and_b32_e32 v10, 0xff, v10
	v_mad_u64_u32 v[12:13], s[4:5], v41, s3, v[10:11]
	v_ashrrev_i32_e32 v13, 31, v12
	v_lshl_add_u64 v[26:27], v[12:13], 2, s[16:17]
	v_or_b32_e32 v12, 0x80, v10
	v_mul_lo_u16_e32 v13, 0xeb, v12
	v_lshrrev_b16_e32 v13, 13, v13
	v_add_u32_e32 v42, v41, v13
	v_mul_lo_u16_e32 v13, 35, v13
	v_sub_u16_e32 v12, v12, v13
	v_and_b32_e32 v12, 0xff, v12
	v_mad_u64_u32 v[14:15], s[4:5], v42, s3, v[12:13]
	v_ashrrev_i32_e32 v15, 31, v14
	v_or_b32_e32 v13, 0x80, v12
	v_lshl_add_u64 v[28:29], v[14:15], 2, s[16:17]
	v_mul_lo_u16_e32 v14, 0xeb, v13
	v_lshrrev_b16_e32 v14, 13, v14
	v_add_u32_e32 v15, v42, v14
	v_mul_lo_u16_e32 v14, 35, v14
	v_sub_u16_e32 v13, v13, v14
	v_and_b32_e32 v14, 0xff, v13
	v_mad_u64_u32 v[16:17], s[4:5], v15, s3, v[14:15]
	v_ashrrev_i32_e32 v17, 31, v16
	v_or_b32_e32 v13, 0x80, v14
	v_lshl_add_u64 v[30:31], v[16:17], 2, s[16:17]
	;; [unrolled: 10-line block ×5, first 2 shown]
	v_mul_lo_u16_e32 v22, 0xeb, v13
	v_lshrrev_b16_e32 v22, 13, v22
	v_add_u32_e32 v23, v21, v22
	v_mul_lo_u16_e32 v22, 35, v22
	v_sub_u16_e32 v13, v13, v22
	v_and_b32_e32 v22, 0xff, v13
	v_mad_u64_u32 v[38:39], s[4:5], v23, s3, v[22:23]
	v_ashrrev_i32_e32 v39, 31, v38
	v_lshl_add_u64 v[38:39], v[38:39], 2, s[16:17]
	global_load_dword v13, v[24:25], off
	global_load_dword v43, v[26:27], off
	;; [unrolled: 1-line block ×8, first 2 shown]
	v_or_b32_e32 v24, 0x80, v22
	v_mul_lo_u16_e32 v25, 0xeb, v24
	v_lshrrev_b16_e32 v25, 13, v25
	v_add_u32_e32 v29, v23, v25
	v_mul_lo_u16_e32 v25, 35, v25
	v_sub_u16_e32 v24, v24, v25
	v_and_b32_e32 v24, 0xff, v24
	v_mad_u64_u32 v[26:27], s[4:5], v29, s3, v[24:25]
	v_or_b32_e32 v25, 0x80, v24
	v_mul_lo_u16_e32 v28, 0xeb, v25
	v_lshrrev_b16_e32 v28, 13, v28
	v_add_u32_e32 v33, v29, v28
	v_mul_lo_u16_e32 v28, 35, v28
	v_sub_u16_e32 v25, v25, v28
	v_and_b32_e32 v28, 0xff, v25
	v_or_b32_e32 v25, 0x80, v28
	v_mul_lo_u16_e32 v32, 0xeb, v25
	v_lshrrev_b16_e32 v32, 13, v32
	v_add_u32_e32 v36, v33, v32
	v_mul_lo_u16_e32 v32, 35, v32
	v_sub_u16_e32 v25, v25, v32
	v_and_b32_e32 v32, 0xff, v25
	v_ashrrev_i32_e32 v27, 31, v26
	v_mad_u64_u32 v[30:31], s[4:5], v33, s3, v[28:29]
	v_mad_u64_u32 v[34:35], s[4:5], v36, s3, v[32:33]
	v_lshl_add_u64 v[26:27], v[26:27], 2, s[16:17]
	v_ashrrev_i32_e32 v31, 31, v30
	v_ashrrev_i32_e32 v35, 31, v34
	v_lshl_add_u64 v[30:31], v[30:31], 2, s[16:17]
	v_lshl_add_u64 v[34:35], v[34:35], 2, s[16:17]
	global_load_dword v25, v[26:27], off
	global_load_dword v37, v[30:31], off
	;; [unrolled: 1-line block ×3, first 2 shown]
	v_or_b32_e32 v26, 0x80, v32
	v_mul_lo_u16_e32 v27, 0xeb, v26
	v_lshrrev_b16_e32 v27, 13, v27
	v_add_u32_e32 v34, v36, v27
	v_mul_lo_u16_e32 v27, 35, v27
	v_sub_u16_e32 v26, v26, v27
	v_and_b32_e32 v26, 0xff, v26
	v_mad_u64_u32 v[30:31], s[4:5], v34, s3, v[26:27]
	v_ashrrev_i32_e32 v31, 31, v30
	v_lshl_add_u64 v[30:31], v[30:31], 2, s[16:17]
	global_load_dword v27, v[30:31], off
	ds_write_b32 v1, v11
	v_mul_lo_u32 v1, v3, s7
	v_add3_u32 v1, 0, v1, v2
	ds_write_b32 v1, v9
	v_mul_lo_u32 v1, v5, s7
	v_lshlrev_b32_e32 v2, 2, v6
	v_add3_u32 v1, 0, v1, v2
	s_waitcnt vmcnt(12)
	ds_write_b32 v1, v7
	v_mul_lo_u32 v1, v40, s7
	v_lshlrev_b32_e32 v2, 2, v8
	v_add3_u32 v1, 0, v1, v2
	v_lshlrev_b32_e32 v2, 2, v10
	s_waitcnt vmcnt(11)
	ds_write_b32 v1, v13
	v_mul_lo_u32 v1, v41, s7
	v_add3_u32 v1, 0, v1, v2
	s_waitcnt vmcnt(10)
	ds_write_b32 v1, v43
	v_mul_lo_u32 v1, v42, s7
	v_lshlrev_b32_e32 v2, 2, v12
	v_add3_u32 v1, 0, v1, v2
	s_waitcnt vmcnt(9)
	ds_write_b32 v1, v44
	v_mul_lo_u32 v1, v15, s7
	v_lshlrev_b32_e32 v2, 2, v14
	;; [unrolled: 5-line block ×7, first 2 shown]
	v_add3_u32 v1, 0, v1, v2
	v_lshlrev_b32_e32 v2, 2, v28
	s_waitcnt vmcnt(3)
	ds_write_b32 v1, v25
	v_mul_lo_u32 v1, v33, s7
	v_add3_u32 v1, 0, v1, v2
	s_waitcnt vmcnt(2)
	ds_write_b32 v1, v37
	v_mul_lo_u32 v1, v36, s7
	v_lshlrev_b32_e32 v2, 2, v32
	v_add3_u32 v1, 0, v1, v2
	s_waitcnt vmcnt(1)
	ds_write_b32 v1, v38
	v_mul_lo_u32 v1, v34, s7
	v_lshlrev_b32_e32 v2, 2, v26
	v_add3_u32 v1, 0, v1, v2
	v_or_b32_e32 v2, 0x80, v26
	s_waitcnt vmcnt(0)
	ds_write_b32 v1, v27
	v_mul_lo_u16_e32 v1, 0xeb, v2
	v_lshrrev_b16_e32 v3, 13, v1
	v_add_u32_e32 v1, v34, v3
	v_mul_lo_u16_e32 v3, 35, v3
	v_sub_u16_e32 v2, v2, v3
	v_and_b32_e32 v2, 0xff, v2
	v_cmp_gt_u32_e32 vcc, s6, v1
	s_and_saveexec_b64 s[4:5], vcc
	s_cbranch_execz .LBB13_2
; %bb.1:
	v_mad_u64_u32 v[4:5], s[8:9], v1, s3, v[2:3]
	v_ashrrev_i32_e32 v5, 31, v4
	v_lshl_add_u64 v[4:5], v[4:5], 2, s[16:17]
	global_load_dword v3, v[4:5], off
	v_mul_lo_u32 v4, v1, s7
	v_lshlrev_b32_e32 v5, 2, v2
	v_add3_u32 v4, 0, v4, v5
	s_waitcnt vmcnt(0)
	ds_write_b32 v4, v3
.LBB13_2:
	s_or_b64 exec, exec, s[4:5]
	v_or_b32_e32 v2, 0x80, v2
	v_mul_lo_u16_e32 v3, 0xeb, v2
	v_lshrrev_b16_e32 v3, 13, v3
	v_add_u32_e32 v1, v1, v3
	v_mul_lo_u16_e32 v3, 35, v3
	v_sub_u16_e32 v2, v2, v3
	v_and_b32_e32 v2, 0xff, v2
	v_cmp_gt_u32_e32 vcc, s6, v1
	s_and_saveexec_b64 s[4:5], vcc
	s_cbranch_execz .LBB13_4
; %bb.3:
	v_mad_u64_u32 v[4:5], s[6:7], v1, s3, v[2:3]
	v_ashrrev_i32_e32 v5, 31, v4
	v_lshl_add_u64 v[4:5], v[4:5], 2, s[16:17]
	global_load_dword v3, v[4:5], off
	s_movk_i32 s6, 0x8c
	v_mul_lo_u32 v4, v1, s6
	v_lshlrev_b32_e32 v5, 2, v2
	v_add3_u32 v4, 0, v4, v5
	s_waitcnt vmcnt(0)
	ds_write_b32 v4, v3
.LBB13_4:
	s_or_b64 exec, exec, s[4:5]
	v_or_b32_e32 v2, 0x80, v2
	v_mul_lo_u16_e32 v3, 0xeb, v2
	v_lshrrev_b16_e32 v3, 13, v3
	v_add_u32_e32 v1, v1, v3
	v_mul_lo_u16_e32 v3, 35, v3
	s_movk_i32 s6, 0x80
	v_sub_u16_e32 v2, v2, v3
	v_and_b32_e32 v2, 0xff, v2
	v_cmp_gt_u32_e32 vcc, s6, v1
	s_and_saveexec_b64 s[4:5], vcc
	s_cbranch_execz .LBB13_6
; %bb.5:
	v_mad_u64_u32 v[4:5], s[8:9], v1, s3, v[2:3]
	v_ashrrev_i32_e32 v5, 31, v4
	v_lshl_add_u64 v[4:5], v[4:5], 2, s[16:17]
	global_load_dword v3, v[4:5], off
	s_movk_i32 s7, 0x8c
	v_mul_lo_u32 v4, v1, s7
	v_lshlrev_b32_e32 v5, 2, v2
	v_add3_u32 v4, 0, v4, v5
	s_waitcnt vmcnt(0)
	ds_write_b32 v4, v3
.LBB13_6:
	s_or_b64 exec, exec, s[4:5]
	v_or_b32_e32 v2, 0x80, v2
	v_mul_lo_u16_e32 v3, 0xeb, v2
	v_lshrrev_b16_e32 v3, 13, v3
	v_add_u32_e32 v1, v1, v3
	v_mul_lo_u16_e32 v3, 35, v3
	v_sub_u16_e32 v2, v2, v3
	v_and_b32_e32 v2, 0xff, v2
	v_cmp_gt_u32_e32 vcc, s6, v1
	s_and_saveexec_b64 s[4:5], vcc
	s_cbranch_execz .LBB13_8
; %bb.7:
	v_mad_u64_u32 v[4:5], s[6:7], v1, s3, v[2:3]
	v_ashrrev_i32_e32 v5, 31, v4
	v_lshl_add_u64 v[4:5], v[4:5], 2, s[16:17]
	global_load_dword v3, v[4:5], off
	s_movk_i32 s6, 0x8c
	v_mul_lo_u32 v4, v1, s6
	v_lshlrev_b32_e32 v5, 2, v2
	v_add3_u32 v4, 0, v4, v5
	s_waitcnt vmcnt(0)
	ds_write_b32 v4, v3
.LBB13_8:
	s_or_b64 exec, exec, s[4:5]
	v_or_b32_e32 v2, 0x80, v2
	v_mul_lo_u16_e32 v3, 0xeb, v2
	v_lshrrev_b16_e32 v3, 13, v3
	v_add_u32_e32 v1, v1, v3
	v_mul_lo_u16_e32 v3, 35, v3
	s_movk_i32 s6, 0x80
	v_sub_u16_e32 v2, v2, v3
	v_and_b32_e32 v2, 0xff, v2
	v_cmp_gt_u32_e32 vcc, s6, v1
	s_and_saveexec_b64 s[4:5], vcc
	s_cbranch_execz .LBB13_10
; %bb.9:
	v_mad_u64_u32 v[4:5], s[8:9], v1, s3, v[2:3]
	v_ashrrev_i32_e32 v5, 31, v4
	v_lshl_add_u64 v[4:5], v[4:5], 2, s[16:17]
	global_load_dword v3, v[4:5], off
	s_movk_i32 s7, 0x8c
	v_mul_lo_u32 v4, v1, s7
	v_lshlrev_b32_e32 v5, 2, v2
	v_add3_u32 v4, 0, v4, v5
	s_waitcnt vmcnt(0)
	ds_write_b32 v4, v3
.LBB13_10:
	;; [unrolled: 47-line block ×3, first 2 shown]
	s_or_b64 exec, exec, s[4:5]
	v_or_b32_e32 v2, 0x80, v2
	v_mul_lo_u16_e32 v3, 0xeb, v2
	v_lshrrev_b16_e32 v3, 13, v3
	v_add_u32_e32 v1, v1, v3
	v_mul_lo_u16_e32 v3, 35, v3
	v_sub_u16_e32 v2, v2, v3
	v_and_b32_e32 v2, 0xff, v2
	v_cmp_gt_u32_e32 vcc, s6, v1
	s_and_saveexec_b64 s[4:5], vcc
	s_cbranch_execz .LBB13_16
; %bb.15:
	v_mad_u64_u32 v[4:5], s[6:7], v1, s3, v[2:3]
	v_ashrrev_i32_e32 v5, 31, v4
	v_lshl_add_u64 v[4:5], v[4:5], 2, s[16:17]
	global_load_dword v3, v[4:5], off
	s_movk_i32 s6, 0x8c
	v_mul_lo_u32 v4, v1, s6
	v_lshlrev_b32_e32 v5, 2, v2
	v_add3_u32 v4, 0, v4, v5
	s_waitcnt vmcnt(0)
	ds_write_b32 v4, v3
.LBB13_16:
	s_or_b64 exec, exec, s[4:5]
	s_load_dwordx4 s[4:7], s[0:1], 0x8
	s_load_dwordx2 s[8:9], s[0:1], 0x28
	s_movk_i32 s10, 0x380
	v_cmp_gt_u32_e32 vcc, s10, v0
	s_and_saveexec_b64 s[18:19], vcc
	s_cbranch_execz .LBB13_37
; %bb.17:
	v_or_b32_e32 v2, 0x80, v2
	v_mul_lo_u16_e32 v3, 0xeb, v2
	v_lshrrev_b16_e32 v3, 13, v3
	v_add_u32_e32 v1, v1, v3
	v_mul_lo_u16_e32 v3, 35, v3
	s_movk_i32 s10, 0x80
	v_sub_u16_e32 v2, v2, v3
	v_and_b32_e32 v2, 0xff, v2
	v_cmp_gt_u32_e32 vcc, s10, v1
	s_and_saveexec_b64 s[20:21], vcc
	s_cbranch_execz .LBB13_19
; %bb.18:
	v_mad_u64_u32 v[4:5], s[22:23], v1, s3, v[2:3]
	v_ashrrev_i32_e32 v5, 31, v4
	v_lshl_add_u64 v[4:5], v[4:5], 2, s[16:17]
	global_load_dword v3, v[4:5], off
	s_movk_i32 s10, 0x8c
	v_mul_lo_u32 v4, v1, s10
	v_lshlrev_b32_e32 v5, 2, v2
	v_add3_u32 v4, 0, v4, v5
	s_waitcnt vmcnt(0)
	ds_write_b32 v4, v3
.LBB13_19:
	s_or_b64 exec, exec, s[20:21]
	s_movk_i32 s10, 0x300
	v_cmp_gt_u32_e32 vcc, s10, v0
	s_and_b64 exec, exec, vcc
	s_cbranch_execz .LBB13_37
; %bb.20:
	v_or_b32_e32 v2, 0x80, v2
	v_mul_lo_u16_e32 v3, 0xeb, v2
	v_lshrrev_b16_e32 v3, 13, v3
	v_add_u32_e32 v1, v1, v3
	v_mul_lo_u16_e32 v3, 35, v3
	s_movk_i32 s10, 0x80
	v_sub_u16_e32 v2, v2, v3
	v_and_b32_e32 v2, 0xff, v2
	v_cmp_gt_u32_e32 vcc, s10, v1
	s_and_saveexec_b64 s[20:21], vcc
	s_cbranch_execz .LBB13_22
; %bb.21:
	v_mad_u64_u32 v[4:5], s[22:23], v1, s3, v[2:3]
	v_ashrrev_i32_e32 v5, 31, v4
	v_lshl_add_u64 v[4:5], v[4:5], 2, s[16:17]
	global_load_dword v3, v[4:5], off
	s_movk_i32 s10, 0x8c
	v_mul_lo_u32 v4, v1, s10
	v_lshlrev_b32_e32 v5, 2, v2
	v_add3_u32 v4, 0, v4, v5
	s_waitcnt vmcnt(0)
	ds_write_b32 v4, v3
.LBB13_22:
	s_or_b64 exec, exec, s[20:21]
	s_movk_i32 s10, 0x280
	v_cmp_gt_u32_e32 vcc, s10, v0
	s_and_b64 exec, exec, vcc
	;; [unrolled: 29-line block ×5, first 2 shown]
	s_cbranch_execz .LBB13_37
; %bb.32:
	v_or_b32_e32 v2, 0x80, v2
	v_mul_lo_u16_e32 v3, 0xeb, v2
	v_lshrrev_b16_e32 v3, 13, v3
	v_add_u32_e32 v1, v1, v3
	v_mul_lo_u16_e32 v3, 35, v3
	s_movk_i32 s10, 0x80
	v_sub_u16_e32 v2, v2, v3
	v_and_b32_e32 v2, 0xff, v2
	v_cmp_gt_u32_e32 vcc, s10, v1
	s_and_saveexec_b64 s[20:21], vcc
	s_cbranch_execz .LBB13_34
; %bb.33:
	v_mad_u64_u32 v[4:5], s[22:23], v1, s3, v[2:3]
	v_ashrrev_i32_e32 v5, 31, v4
	v_lshl_add_u64 v[4:5], v[4:5], 2, s[16:17]
	global_load_dword v3, v[4:5], off
	s_movk_i32 s22, 0x8c
	v_mul_lo_u32 v4, v1, s22
	v_lshlrev_b32_e32 v5, 2, v2
	v_add3_u32 v4, 0, v4, v5
	s_waitcnt vmcnt(0)
	ds_write_b32 v4, v3
.LBB13_34:
	s_or_b64 exec, exec, s[20:21]
	v_cmp_gt_u32_e32 vcc, s10, v0
	s_and_b64 exec, exec, vcc
	s_cbranch_execz .LBB13_37
; %bb.35:
	v_or_b32_e32 v2, 0x80, v2
	v_mul_lo_u16_e32 v3, 0xeb, v2
	v_lshrrev_b16_e32 v3, 13, v3
	v_add_u32_e32 v1, v1, v3
	v_cmp_gt_u32_e32 vcc, s10, v1
	s_and_b64 exec, exec, vcc
	s_cbranch_execz .LBB13_37
; %bb.36:
	v_mul_lo_u16_e32 v3, 35, v3
	v_sub_u16_e32 v2, v2, v3
	v_and_b32_e32 v2, 0xff, v2
	v_mad_u64_u32 v[4:5], s[20:21], v1, s3, v[2:3]
	v_ashrrev_i32_e32 v5, 31, v4
	v_lshl_add_u64 v[4:5], v[4:5], 2, s[16:17]
	global_load_dword v3, v[4:5], off
	s_movk_i32 s3, 0x8c
	v_mul_lo_u32 v1, v1, s3
	v_lshlrev_b32_e32 v2, 2, v2
	v_add3_u32 v1, 0, v1, v2
	s_waitcnt vmcnt(0)
	ds_write_b32 v1, v3
.LBB13_37:
	s_or_b64 exec, exec, s[18:19]
	s_ashr_i32 s3, s11, 31
	s_mul_hi_u32 s10, s12, s11
	s_mul_i32 s3, s12, s3
	s_add_i32 s3, s10, s3
	s_mul_i32 s10, s13, s11
	s_add_i32 s3, s3, s10
	s_mul_i32 s10, s12, s11
	s_waitcnt lgkmcnt(0)
	s_add_u32 s4, s4, s10
	s_addc_u32 s5, s5, s3
	s_ashr_i32 s3, s11, 2
	v_mul_lo_u32 v2, s3, v0
	v_ashrrev_i32_e32 v3, 31, v2
	v_lshl_add_u64 v[2:3], v[2:3], 2, s[4:5]
	s_barrier
	global_load_dwordx4 v[2:5], v[2:3], off
	s_cmp_eq_u64 s[6:7], 0
	v_lshlrev_b32_e32 v8, 2, v0
	s_cbranch_scc1 .LBB13_39
; %bb.38:
	s_lshl_b64 s[4:5], s[12:13], 2
	s_add_u32 s4, s6, s4
	s_addc_u32 s5, s7, s5
	global_load_dword v6, v8, s[4:5]
	s_branch .LBB13_40
.LBB13_39:
	v_mov_b32_e32 v6, 0
.LBB13_40:
	s_load_dwordx2 s[4:5], s[0:1], 0x40
	s_waitcnt lgkmcnt(0)
	s_sub_u32 s6, s4, s14
	s_subb_u32 s7, s5, s15
	v_cmp_lt_i64_e64 s[4:5], s[6:7], 1
	s_and_b64 vcc, exec, s[4:5]
	s_cbranch_vccnz .LBB13_48
; %bb.41:
	s_load_dwordx4 s[16:19], s[0:1], 0x30
	v_cmp_lt_u64_e64 s[4:5], s[6:7], 32
	v_mul_u32_u24_e32 v20, 0x8c, v0
	v_mov_b32_e32 v9, 0
	s_mov_b32 s3, 0
	s_waitcnt lgkmcnt(0)
	s_ashr_i32 s0, s17, 31
	s_mul_hi_u32 s1, s14, s17
	s_mul_i32 s0, s14, s0
	s_mul_i32 s10, s18, s2
	;; [unrolled: 1-line block ×3, first 2 shown]
	s_add_i32 s15, s1, s0
	s_ashr_i32 s0, s16, 31
	s_mul_hi_u32 s1, s12, s16
	s_mul_i32 s0, s12, s0
	s_add_i32 s0, s1, s0
	s_mul_i32 s1, s13, s16
	s_ashr_i32 s11, s10, 31
	s_add_i32 s15, s15, s2
	s_add_i32 s13, s0, s1
	s_ashr_i32 s0, s17, 2
	s_and_b64 s[4:5], s[4:5], exec
	s_cselect_b32 s5, s7, 0
	s_cselect_b32 s4, s6, 32
	s_cmp_eq_u64 s[6:7], 1
	s_cselect_b64 s[6:7], -1, 0
	s_cmp_lg_u32 s0, 1
	s_mul_i32 s14, s14, s17
	s_mul_i32 s12, s12, s16
	s_cselect_b64 s[16:17], -1, 0
	s_or_b64 s[6:7], s[6:7], s[16:17]
	s_and_b64 vcc, exec, s[6:7]
	s_cbranch_vccnz .LBB13_45
; %bb.42:
	s_add_u32 s1, s8, s10
	s_addc_u32 s2, s9, s11
	v_add_u32_e32 v21, 0, v20
	s_add_u32 s1, s1, s14
	ds_read2_b32 v[18:19], v21 offset1:1
	s_addc_u32 s2, s2, s15
	s_add_u32 s6, s1, s12
	s_addc_u32 s7, s2, s13
	s_and_b32 s2, s4, 62
	v_lshl_add_u64 v[0:1], s[6:7], 0, v[8:9]
	s_waitcnt vmcnt(0)
	v_mov_b32_e32 v10, v2
	v_mov_b32_e32 v11, v2
	;; [unrolled: 1-line block ×9, first 2 shown]
	s_mov_b64 s[6:7], s[2:3]
.LBB13_43:                              ; =>This Inner Loop Header: Depth=1
	s_waitcnt lgkmcnt(0)
	v_pk_fma_f32 v[22:23], v[10:11], v[18:19], 0 op_sel_hi:[1,1,0]
	ds_read2_b32 v[24:25], v21 offset0:1 offset1:2
	ds_read2_b32 v[18:19], v21 offset0:2 offset1:3
	ds_read2_b32 v[26:27], v21 offset0:3 offset1:4
	s_add_u32 s6, s6, -2
	v_add_u32_e32 v9, 8, v21
	s_waitcnt lgkmcnt(2)
	v_pk_fma_f32 v[22:23], v[12:13], v[24:25], v[22:23]
	s_addc_u32 s7, s7, -1
	s_waitcnt lgkmcnt(1)
	v_pk_fma_f32 v[22:23], v[14:15], v[18:19], v[22:23]
	v_mov_b32_e32 v21, v9
	s_waitcnt lgkmcnt(0)
	v_pk_fma_f32 v[22:23], v[16:17], v[26:27], v[22:23]
	s_cmp_lg_u64 s[6:7], 0
	v_pk_add_f32 v[22:23], v[6:7], v[22:23]
	global_store_dwordx2 v[0:1], v[22:23], off
	v_lshl_add_u64 v[0:1], v[0:1], 0, 8
	s_cbranch_scc1 .LBB13_43
; %bb.44:
	s_cmp_lg_u64 s[4:5], s[2:3]
	s_cselect_b64 s[6:7], -1, 0
	s_and_b64 vcc, exec, s[6:7]
	s_cbranch_vccnz .LBB13_46
	s_branch .LBB13_48
.LBB13_45:
	s_mov_b64 s[2:3], 0
	s_cbranch_execz .LBB13_48
.LBB13_46:
	s_ashr_i32 s1, s0, 31
	s_sub_u32 s4, s4, s2
	s_subb_u32 s5, s5, s3
	s_add_u32 s3, s12, s14
	s_mul_hi_i32 s7, s2, s0
	s_mul_i32 s6, s2, s0
	s_addc_u32 s12, s13, s15
	s_lshl_b64 s[6:7], s[6:7], 2
	s_add_u32 s3, s3, s6
	s_addc_u32 s7, s12, s7
	s_add_u32 s6, s8, s10
	s_addc_u32 s8, s9, s11
	;; [unrolled: 2-line block ×3, first 2 shown]
	s_lshl_b32 s2, s2, 2
	v_mov_b32_e32 v9, 0
	s_add_i32 s2, s2, 0
	v_lshl_add_u64 v[0:1], s[6:7], 0, v[8:9]
	s_lshl_b64 s[0:1], s[0:1], 2
	v_add_u32_e32 v7, s2, v20
	s_waitcnt vmcnt(0)
.LBB13_47:                              ; =>This Inner Loop Header: Depth=1
	ds_read2_b32 v[8:9], v7 offset1:1
	ds_read2_b32 v[10:11], v7 offset0:2 offset1:3
	s_add_u32 s4, s4, -1
	s_addc_u32 s5, s5, -1
	v_add_u32_e32 v7, 4, v7
	s_waitcnt lgkmcnt(1)
	v_pk_mul_f32 v[8:9], v[2:3], v[8:9]
	s_waitcnt lgkmcnt(0)
	v_pk_mul_f32 v[10:11], v[4:5], v[10:11]
	v_add_f32_e32 v8, 0, v8
	v_add_f32_e32 v8, v8, v9
	;; [unrolled: 1-line block ×5, first 2 shown]
	s_cmp_lg_u64 s[4:5], 0
	global_store_dword v[0:1], v8, off
	v_lshl_add_u64 v[0:1], v[0:1], 0, s[0:1]
	s_cbranch_scc1 .LBB13_47
.LBB13_48:
	s_endpgm
	.section	.rodata,"a",@progbits
	.p2align	6, 0x0
	.amdhsa_kernel _ZL23ssm_conv_long_token_f32ILb0ELm128ELm4ELl32EEvPKfS1_S1_iiiiPfiiil
		.amdhsa_group_segment_fixed_size 0
		.amdhsa_private_segment_fixed_size 0
		.amdhsa_kernarg_size 72
		.amdhsa_user_sgpr_count 2
		.amdhsa_user_sgpr_dispatch_ptr 0
		.amdhsa_user_sgpr_queue_ptr 0
		.amdhsa_user_sgpr_kernarg_segment_ptr 1
		.amdhsa_user_sgpr_dispatch_id 0
		.amdhsa_user_sgpr_kernarg_preload_length 0
		.amdhsa_user_sgpr_kernarg_preload_offset 0
		.amdhsa_user_sgpr_private_segment_size 0
		.amdhsa_uses_dynamic_stack 0
		.amdhsa_enable_private_segment 0
		.amdhsa_system_sgpr_workgroup_id_x 1
		.amdhsa_system_sgpr_workgroup_id_y 1
		.amdhsa_system_sgpr_workgroup_id_z 1
		.amdhsa_system_sgpr_workgroup_info 0
		.amdhsa_system_vgpr_workitem_id 0
		.amdhsa_next_free_vgpr 50
		.amdhsa_next_free_sgpr 24
		.amdhsa_accum_offset 52
		.amdhsa_reserve_vcc 1
		.amdhsa_float_round_mode_32 0
		.amdhsa_float_round_mode_16_64 0
		.amdhsa_float_denorm_mode_32 3
		.amdhsa_float_denorm_mode_16_64 3
		.amdhsa_dx10_clamp 1
		.amdhsa_ieee_mode 1
		.amdhsa_fp16_overflow 0
		.amdhsa_tg_split 0
		.amdhsa_exception_fp_ieee_invalid_op 0
		.amdhsa_exception_fp_denorm_src 0
		.amdhsa_exception_fp_ieee_div_zero 0
		.amdhsa_exception_fp_ieee_overflow 0
		.amdhsa_exception_fp_ieee_underflow 0
		.amdhsa_exception_fp_ieee_inexact 0
		.amdhsa_exception_int_div_zero 0
	.end_amdhsa_kernel
	.section	.text._ZL23ssm_conv_long_token_f32ILb0ELm128ELm4ELl32EEvPKfS1_S1_iiiiPfiiil,"axG",@progbits,_ZL23ssm_conv_long_token_f32ILb0ELm128ELm4ELl32EEvPKfS1_S1_iiiiPfiiil,comdat
.Lfunc_end13:
	.size	_ZL23ssm_conv_long_token_f32ILb0ELm128ELm4ELl32EEvPKfS1_S1_iiiiPfiiil, .Lfunc_end13-_ZL23ssm_conv_long_token_f32ILb0ELm128ELm4ELl32EEvPKfS1_S1_iiiiPfiiil
                                        ; -- End function
	.set _ZL23ssm_conv_long_token_f32ILb0ELm128ELm4ELl32EEvPKfS1_S1_iiiiPfiiil.num_vgpr, 50
	.set _ZL23ssm_conv_long_token_f32ILb0ELm128ELm4ELl32EEvPKfS1_S1_iiiiPfiiil.num_agpr, 0
	.set _ZL23ssm_conv_long_token_f32ILb0ELm128ELm4ELl32EEvPKfS1_S1_iiiiPfiiil.numbered_sgpr, 24
	.set _ZL23ssm_conv_long_token_f32ILb0ELm128ELm4ELl32EEvPKfS1_S1_iiiiPfiiil.num_named_barrier, 0
	.set _ZL23ssm_conv_long_token_f32ILb0ELm128ELm4ELl32EEvPKfS1_S1_iiiiPfiiil.private_seg_size, 0
	.set _ZL23ssm_conv_long_token_f32ILb0ELm128ELm4ELl32EEvPKfS1_S1_iiiiPfiiil.uses_vcc, 1
	.set _ZL23ssm_conv_long_token_f32ILb0ELm128ELm4ELl32EEvPKfS1_S1_iiiiPfiiil.uses_flat_scratch, 0
	.set _ZL23ssm_conv_long_token_f32ILb0ELm128ELm4ELl32EEvPKfS1_S1_iiiiPfiiil.has_dyn_sized_stack, 0
	.set _ZL23ssm_conv_long_token_f32ILb0ELm128ELm4ELl32EEvPKfS1_S1_iiiiPfiiil.has_recursion, 0
	.set _ZL23ssm_conv_long_token_f32ILb0ELm128ELm4ELl32EEvPKfS1_S1_iiiiPfiiil.has_indirect_call, 0
	.section	.AMDGPU.csdata,"",@progbits
; Kernel info:
; codeLenInByte = 4804
; TotalNumSgprs: 30
; NumVgprs: 50
; NumAgprs: 0
; TotalNumVgprs: 50
; ScratchSize: 0
; MemoryBound: 0
; FloatMode: 240
; IeeeMode: 1
; LDSByteSize: 0 bytes/workgroup (compile time only)
; SGPRBlocks: 3
; VGPRBlocks: 6
; NumSGPRsForWavesPerEU: 30
; NumVGPRsForWavesPerEU: 50
; AccumOffset: 52
; Occupancy: 8
; WaveLimiterHint : 0
; COMPUTE_PGM_RSRC2:SCRATCH_EN: 0
; COMPUTE_PGM_RSRC2:USER_SGPR: 2
; COMPUTE_PGM_RSRC2:TRAP_HANDLER: 0
; COMPUTE_PGM_RSRC2:TGID_X_EN: 1
; COMPUTE_PGM_RSRC2:TGID_Y_EN: 1
; COMPUTE_PGM_RSRC2:TGID_Z_EN: 1
; COMPUTE_PGM_RSRC2:TIDIG_COMP_CNT: 0
; COMPUTE_PGM_RSRC3_GFX90A:ACCUM_OFFSET: 12
; COMPUTE_PGM_RSRC3_GFX90A:TG_SPLIT: 0
	.section	.text._ZL12ssm_conv_f32ILb0ELm128ELm5EEvPKfS1_S1_iiiiPfiiil,"axG",@progbits,_ZL12ssm_conv_f32ILb0ELm128ELm5EEvPKfS1_S1_iiiiPfiiil,comdat
	.globl	_ZL12ssm_conv_f32ILb0ELm128ELm5EEvPKfS1_S1_iiiiPfiiil ; -- Begin function _ZL12ssm_conv_f32ILb0ELm128ELm5EEvPKfS1_S1_iiiiPfiiil
	.p2align	8
	.type	_ZL12ssm_conv_f32ILb0ELm128ELm5EEvPKfS1_S1_iiiiPfiiil,@function
_ZL12ssm_conv_f32ILb0ELm128ELm5EEvPKfS1_S1_iiiiPfiiil: ; @_ZL12ssm_conv_f32ILb0ELm128ELm5EEvPKfS1_S1_iiiiPfiiil
; %bb.0:
	s_load_dwordx4 s[8:11], s[0:1], 0x1c
	s_load_dwordx4 s[4:7], s[0:1], 0x0
	s_load_dwordx2 s[14:15], s[0:1], 0x10
	s_mov_b32 s12, s3
	s_ashr_i32 s13, s3, 31
	s_lshl_b64 s[18:19], s[12:13], 7
	s_waitcnt lgkmcnt(0)
	s_ashr_i32 s3, s10, 31
	s_mul_i32 s3, s18, s3
	s_mul_hi_u32 s11, s18, s10
	s_lshr_b64 s[12:13], s[12:13], 25
	s_add_i32 s3, s11, s3
	s_mul_i32 s11, s12, s10
	s_add_i32 s3, s3, s11
	s_mul_i32 s11, s18, s10
	s_add_u32 s12, s6, s11
	s_addc_u32 s13, s7, s3
	s_cmp_eq_u64 s[14:15], 0
	v_lshlrev_b32_e32 v14, 2, v0
	s_cbranch_scc1 .LBB14_2
; %bb.1:
	s_lshl_b64 s[6:7], s[18:19], 2
	s_add_u32 s6, s14, s6
	s_addc_u32 s7, s15, s7
	global_load_dword v18, v14, s[6:7]
	s_load_dwordx2 s[6:7], s[0:1], 0x40
	s_waitcnt lgkmcnt(0)
	v_cmp_lt_i64_e64 s[14:15], s[6:7], 1
	s_and_b64 vcc, exec, s[14:15]
	s_cbranch_vccz .LBB14_3
	s_branch .LBB14_6
.LBB14_2:
	v_mov_b32_e32 v18, 0
	s_load_dwordx2 s[6:7], s[0:1], 0x40
	s_waitcnt lgkmcnt(0)
	v_cmp_lt_i64_e64 s[14:15], s[6:7], 1
	s_and_b64 vcc, exec, s[14:15]
	s_cbranch_vccnz .LBB14_6
.LBB14_3:
	s_ashr_i32 s3, s10, 2
	v_mul_lo_u32 v2, s3, v0
	v_ashrrev_i32_e32 v3, 31, v2
	v_lshl_add_u64 v[10:11], v[2:3], 2, s[12:13]
	global_load_dwordx4 v[2:5], v[10:11], off
	s_load_dwordx2 s[16:17], s[0:1], 0x28
	s_load_dwordx4 s[12:15], s[0:1], 0x30
	s_ashr_i32 s1, s8, 31
	s_mul_i32 s0, s9, s2
	s_mul_hi_u32 s9, s18, s8
	s_mul_i32 s1, s18, s1
	s_add_i32 s1, s9, s1
	s_mul_i32 s9, s19, s8
	s_add_i32 s10, s1, s9
	s_waitcnt lgkmcnt(0)
	s_mul_i32 s1, s14, s2
	s_ashr_i32 s3, s0, 31
	s_ashr_i32 s2, s1, 31
	s_add_u32 s9, s16, s1
	s_addc_u32 s15, s17, s2
	s_ashr_i32 s14, s12, 31
	s_mul_hi_u32 s20, s18, s12
	s_mul_i32 s14, s18, s14
	s_add_i32 s14, s20, s14
	s_mul_i32 s19, s19, s12
	s_add_i32 s14, s14, s19
	s_mul_i32 s12, s18, s12
	s_mul_i32 s11, s18, s8
	s_add_u32 s18, s9, s12
	s_addc_u32 s19, s15, s14
	s_add_u32 s9, s4, s0
	s_addc_u32 s15, s5, s3
	;; [unrolled: 2-line block ×3, first 2 shown]
	s_ashr_i32 s8, s8, 2
	v_mul_lo_u32 v12, s8, v0
	v_ashrrev_i32_e32 v13, 31, v12
	v_lshl_add_u64 v[20:21], v[12:13], 2, s[20:21]
	global_load_dwordx4 v[6:9], v[20:21], off
	global_load_dword v17, v[20:21], off offset:16
	global_load_dword v1, v[10:11], off offset:16
	v_mov_b32_e32 v15, 0
	s_cmp_eq_u64 s[6:7], 1
	s_waitcnt vmcnt(3)
	v_mov_b32_e32 v10, v3
	v_mov_b32_e32 v11, v4
	;; [unrolled: 1-line block ×3, first 2 shown]
	s_waitcnt vmcnt(2)
	v_pk_mov_b32 v[4:5], v[6:7], v[8:9] op_sel:[1,0]
	v_fma_f32 v3, v2, v6, 0
	v_pk_mul_f32 v[4:5], v[10:11], v[4:5]
	v_mov_b32_e32 v16, v9
	v_add_f32_e32 v3, v3, v4
	s_waitcnt vmcnt(0)
	v_pk_mul_f32 v[20:21], v[0:1], v[16:17]
	v_add_f32_e32 v3, v3, v5
	v_add_f32_e32 v3, v3, v20
	;; [unrolled: 1-line block ×4, first 2 shown]
	global_store_dword v14, v3, s[18:19]
	s_cbranch_scc1 .LBB14_6
; %bb.4:
	s_ashr_i32 s18, s13, 2
	s_ashr_i32 s19, s18, 31
	s_add_u32 s8, s6, -1
	s_addc_u32 s9, s7, -1
	s_add_u32 s0, s4, s0
	s_addc_u32 s3, s5, s3
	s_add_u32 s4, s0, s11
	s_addc_u32 s5, s3, s10
	s_lshl_b64 s[10:11], s[18:19], 2
	s_add_u32 s0, s12, s10
	s_addc_u32 s3, s14, s11
	s_add_u32 s1, s16, s1
	s_addc_u32 s2, s17, s2
	s_add_u32 s0, s1, s0
	v_lshl_add_u64 v[12:13], v[12:13], 2, s[4:5]
	s_addc_u32 s1, s2, s3
	v_mov_b32_e32 v4, v17
	v_lshl_add_u64 v[12:13], v[12:13], 0, 20
	v_lshl_add_u64 v[14:15], s[0:1], 0, v[14:15]
	s_mov_b64 s[12:13], 1
	s_mov_b64 s[14:15], 5
	;; [unrolled: 1-line block ×6, first 2 shown]
.LBB14_5:                               ; =>This Inner Loop Header: Depth=1
	global_load_dword v3, v[12:13], off
	s_mul_i32 s3, s13, 0xcccccccd
	s_mul_hi_u32 s4, s12, 0xcccccccd
	s_mul_hi_u32 s2, s13, 0xcccccccd
	s_add_u32 s3, s3, s4
	s_mul_i32 s1, s12, 0xcccccccc
	s_addc_u32 s2, s2, 0
	s_mul_hi_u32 s0, s12, 0xcccccccc
	s_add_u32 s1, s1, s3
	s_addc_u32 s0, s0, 0
	s_add_u32 s0, s2, s0
	s_mul_i32 s6, s13, 0xcccccccc
	s_addc_u32 s1, 0, 0
	s_mul_hi_u32 s5, s13, 0xcccccccc
	s_add_u32 s0, s6, s0
	s_addc_u32 s1, s5, s1
	s_lshr_b64 s[0:1], s[0:1], 2
	s_mul_i32 s0, s0, 5
	s_mul_i32 s26, s15, 0xcccccccd
	s_mul_hi_u32 s27, s14, 0xcccccccd
	s_sub_i32 s59, s12, s0
	s_mul_hi_u32 s25, s15, 0xcccccccd
	s_add_u32 s0, s26, s27
	s_mul_i32 s24, s14, 0xcccccccc
	s_addc_u32 s1, s25, 0
	s_mul_hi_u32 s7, s14, 0xcccccccc
	s_add_u32 s0, s24, s0
	s_addc_u32 s0, s7, 0
	s_add_u32 s0, s1, s0
	s_mul_i32 s29, s15, 0xcccccccc
	s_addc_u32 s1, 0, 0
	s_mul_hi_u32 s28, s15, 0xcccccccc
	s_add_u32 s0, s29, s0
	s_addc_u32 s1, s28, s1
	s_lshr_b64 s[0:1], s[0:1], 2
	s_mul_i32 s0, s0, 5
	s_mul_i32 s34, s17, 0xcccccccd
	s_mul_hi_u32 s35, s16, 0xcccccccd
	s_sub_i32 s24, s14, s0
	;; [unrolled: 18-line block ×5, first 2 shown]
	s_mul_hi_u32 s54, s23, 0xcccccccd
	s_add_u32 s0, s55, s56
	s_mul_i32 s53, s22, 0xcccccccc
	s_addc_u32 s1, s54, 0
	s_mul_hi_u32 s52, s22, 0xcccccccc
	s_add_u32 s0, s53, s0
	s_addc_u32 s0, s52, 0
	s_add_u32 s0, s1, s0
	s_mul_i32 s58, s23, 0xcccccccc
	s_addc_u32 s1, 0, 0
	s_mul_hi_u32 s57, s23, 0xcccccccc
	s_add_u32 s0, s58, s0
	s_addc_u32 s1, s57, s1
	s_lshr_b64 s[0:1], s[0:1], 2
	s_mul_i32 s0, s0, 5
	s_sub_i32 s6, s22, s0
	s_cmp_eq_u32 s6, 4
	s_cselect_b64 vcc, -1, 0
	s_cmp_eq_u32 s6, 3
	s_cselect_b64 s[0:1], -1, 0
	s_cmp_eq_u32 s6, 2
	s_cselect_b64 s[2:3], -1, 0
	;; [unrolled: 2-line block ×4, first 2 shown]
	s_cmp_eq_u32 s59, 1
	s_waitcnt vmcnt(0)
	v_cndmask_b32_e32 v4, v4, v3, vcc
	v_cndmask_b32_e64 v7, v7, v3, s[4:5]
	v_cndmask_b32_e64 v6, v6, v3, s[6:7]
	s_cselect_b64 vcc, -1, 0
	s_cmp_eq_u32 s59, 2
	v_cndmask_b32_e64 v9, v9, v3, s[0:1]
	v_cndmask_b32_e64 v8, v8, v3, s[2:3]
	v_cndmask_b32_e32 v3, v6, v7, vcc
	s_cselect_b64 vcc, -1, 0
	s_cmp_eq_u32 s59, 3
	v_cndmask_b32_e32 v3, v3, v8, vcc
	s_cselect_b64 vcc, -1, 0
	s_cmp_eq_u32 s59, 4
	v_cndmask_b32_e32 v3, v3, v9, vcc
	s_cselect_b64 vcc, -1, 0
	s_add_u32 s12, s12, 1
	s_addc_u32 s13, s13, 0
	s_cmp_eq_u32 s27, 1
	v_cndmask_b32_e32 v3, v3, v4, vcc
	s_cselect_b64 vcc, -1, 0
	s_cmp_eq_u32 s27, 2
	v_cndmask_b32_e32 v5, v6, v7, vcc
	s_cselect_b64 vcc, -1, 0
	s_cmp_eq_u32 s27, 3
	v_cndmask_b32_e32 v5, v5, v8, vcc
	s_cselect_b64 vcc, -1, 0
	s_cmp_eq_u32 s27, 4
	v_cndmask_b32_e32 v5, v5, v9, vcc
	s_cselect_b64 vcc, -1, 0
	s_cmp_eq_u32 s26, 1
	v_cndmask_b32_e32 v16, v5, v4, vcc
	s_cselect_b64 vcc, -1, 0
	s_cmp_eq_u32 s26, 2
	v_cndmask_b32_e32 v5, v6, v7, vcc
	s_cselect_b64 vcc, -1, 0
	s_cmp_eq_u32 s26, 3
	v_cndmask_b32_e32 v5, v5, v8, vcc
	s_cselect_b64 vcc, -1, 0
	s_cmp_eq_u32 s26, 4
	v_cndmask_b32_e32 v5, v5, v9, vcc
	s_cselect_b64 vcc, -1, 0
	s_cmp_eq_u32 s25, 1
	v_cndmask_b32_e32 v17, v5, v4, vcc
	s_cselect_b64 vcc, -1, 0
	s_cmp_eq_u32 s25, 2
	v_cndmask_b32_e32 v5, v6, v7, vcc
	s_cselect_b64 vcc, -1, 0
	s_cmp_eq_u32 s25, 3
	v_cndmask_b32_e32 v5, v5, v8, vcc
	s_cselect_b64 vcc, -1, 0
	s_cmp_eq_u32 s25, 4
	v_fma_f32 v3, v2, v3, 0
	v_pk_mul_f32 v[16:17], v[10:11], v[16:17]
	v_cndmask_b32_e32 v5, v5, v9, vcc
	s_cselect_b64 vcc, -1, 0
	s_cmp_eq_u32 s24, 1
	v_add_f32_e32 v3, v3, v16
	v_cndmask_b32_e32 v16, v5, v4, vcc
	s_cselect_b64 vcc, -1, 0
	s_cmp_eq_u32 s24, 2
	v_cndmask_b32_e32 v5, v6, v7, vcc
	s_cselect_b64 vcc, -1, 0
	s_cmp_eq_u32 s24, 3
	;; [unrolled: 3-line block ×3, first 2 shown]
	v_cndmask_b32_e32 v5, v5, v9, vcc
	s_cselect_b64 vcc, -1, 0
	s_add_u32 s14, s14, 1
	s_addc_u32 s15, s15, 0
	s_add_u32 s16, s16, 1
	s_addc_u32 s17, s17, 0
	;; [unrolled: 2-line block ×3, first 2 shown]
	s_add_u32 s8, s8, -1
	v_add_f32_e32 v3, v3, v17
	v_cndmask_b32_e32 v17, v5, v4, vcc
	s_addc_u32 s9, s9, -1
	v_pk_mul_f32 v[16:17], v[0:1], v[16:17]
	s_add_u32 s20, s20, 1
	v_add_f32_e32 v3, v3, v16
	s_addc_u32 s21, s21, 0
	v_add_f32_e32 v3, v3, v17
	s_add_u32 s22, s22, 1
	v_add_f32_e32 v3, v18, v3
	s_addc_u32 s23, s23, 0
	v_lshl_add_u64 v[12:13], v[12:13], 0, 4
	global_store_dword v[14:15], v3, off
	s_cmp_eq_u64 s[8:9], 0
	v_lshl_add_u64 v[14:15], v[14:15], 0, s[10:11]
	s_cbranch_scc0 .LBB14_5
.LBB14_6:
	s_endpgm
	.section	.rodata,"a",@progbits
	.p2align	6, 0x0
	.amdhsa_kernel _ZL12ssm_conv_f32ILb0ELm128ELm5EEvPKfS1_S1_iiiiPfiiil
		.amdhsa_group_segment_fixed_size 0
		.amdhsa_private_segment_fixed_size 0
		.amdhsa_kernarg_size 72
		.amdhsa_user_sgpr_count 2
		.amdhsa_user_sgpr_dispatch_ptr 0
		.amdhsa_user_sgpr_queue_ptr 0
		.amdhsa_user_sgpr_kernarg_segment_ptr 1
		.amdhsa_user_sgpr_dispatch_id 0
		.amdhsa_user_sgpr_kernarg_preload_length 0
		.amdhsa_user_sgpr_kernarg_preload_offset 0
		.amdhsa_user_sgpr_private_segment_size 0
		.amdhsa_uses_dynamic_stack 0
		.amdhsa_enable_private_segment 0
		.amdhsa_system_sgpr_workgroup_id_x 1
		.amdhsa_system_sgpr_workgroup_id_y 1
		.amdhsa_system_sgpr_workgroup_id_z 0
		.amdhsa_system_sgpr_workgroup_info 0
		.amdhsa_system_vgpr_workitem_id 0
		.amdhsa_next_free_vgpr 22
		.amdhsa_next_free_sgpr 60
		.amdhsa_accum_offset 24
		.amdhsa_reserve_vcc 1
		.amdhsa_float_round_mode_32 0
		.amdhsa_float_round_mode_16_64 0
		.amdhsa_float_denorm_mode_32 3
		.amdhsa_float_denorm_mode_16_64 3
		.amdhsa_dx10_clamp 1
		.amdhsa_ieee_mode 1
		.amdhsa_fp16_overflow 0
		.amdhsa_tg_split 0
		.amdhsa_exception_fp_ieee_invalid_op 0
		.amdhsa_exception_fp_denorm_src 0
		.amdhsa_exception_fp_ieee_div_zero 0
		.amdhsa_exception_fp_ieee_overflow 0
		.amdhsa_exception_fp_ieee_underflow 0
		.amdhsa_exception_fp_ieee_inexact 0
		.amdhsa_exception_int_div_zero 0
	.end_amdhsa_kernel
	.section	.text._ZL12ssm_conv_f32ILb0ELm128ELm5EEvPKfS1_S1_iiiiPfiiil,"axG",@progbits,_ZL12ssm_conv_f32ILb0ELm128ELm5EEvPKfS1_S1_iiiiPfiiil,comdat
.Lfunc_end14:
	.size	_ZL12ssm_conv_f32ILb0ELm128ELm5EEvPKfS1_S1_iiiiPfiiil, .Lfunc_end14-_ZL12ssm_conv_f32ILb0ELm128ELm5EEvPKfS1_S1_iiiiPfiiil
                                        ; -- End function
	.set _ZL12ssm_conv_f32ILb0ELm128ELm5EEvPKfS1_S1_iiiiPfiiil.num_vgpr, 22
	.set _ZL12ssm_conv_f32ILb0ELm128ELm5EEvPKfS1_S1_iiiiPfiiil.num_agpr, 0
	.set _ZL12ssm_conv_f32ILb0ELm128ELm5EEvPKfS1_S1_iiiiPfiiil.numbered_sgpr, 60
	.set _ZL12ssm_conv_f32ILb0ELm128ELm5EEvPKfS1_S1_iiiiPfiiil.num_named_barrier, 0
	.set _ZL12ssm_conv_f32ILb0ELm128ELm5EEvPKfS1_S1_iiiiPfiiil.private_seg_size, 0
	.set _ZL12ssm_conv_f32ILb0ELm128ELm5EEvPKfS1_S1_iiiiPfiiil.uses_vcc, 1
	.set _ZL12ssm_conv_f32ILb0ELm128ELm5EEvPKfS1_S1_iiiiPfiiil.uses_flat_scratch, 0
	.set _ZL12ssm_conv_f32ILb0ELm128ELm5EEvPKfS1_S1_iiiiPfiiil.has_dyn_sized_stack, 0
	.set _ZL12ssm_conv_f32ILb0ELm128ELm5EEvPKfS1_S1_iiiiPfiiil.has_recursion, 0
	.set _ZL12ssm_conv_f32ILb0ELm128ELm5EEvPKfS1_S1_iiiiPfiiil.has_indirect_call, 0
	.section	.AMDGPU.csdata,"",@progbits
; Kernel info:
; codeLenInByte = 1656
; TotalNumSgprs: 66
; NumVgprs: 22
; NumAgprs: 0
; TotalNumVgprs: 22
; ScratchSize: 0
; MemoryBound: 0
; FloatMode: 240
; IeeeMode: 1
; LDSByteSize: 0 bytes/workgroup (compile time only)
; SGPRBlocks: 8
; VGPRBlocks: 2
; NumSGPRsForWavesPerEU: 66
; NumVGPRsForWavesPerEU: 22
; AccumOffset: 24
; Occupancy: 8
; WaveLimiterHint : 0
; COMPUTE_PGM_RSRC2:SCRATCH_EN: 0
; COMPUTE_PGM_RSRC2:USER_SGPR: 2
; COMPUTE_PGM_RSRC2:TRAP_HANDLER: 0
; COMPUTE_PGM_RSRC2:TGID_X_EN: 1
; COMPUTE_PGM_RSRC2:TGID_Y_EN: 1
; COMPUTE_PGM_RSRC2:TGID_Z_EN: 0
; COMPUTE_PGM_RSRC2:TIDIG_COMP_CNT: 0
; COMPUTE_PGM_RSRC3_GFX90A:ACCUM_OFFSET: 5
; COMPUTE_PGM_RSRC3_GFX90A:TG_SPLIT: 0
	.section	.text._ZL23ssm_conv_long_token_f32ILb0ELm128ELm5ELl32EEvPKfS1_S1_iiiiPfiiil,"axG",@progbits,_ZL23ssm_conv_long_token_f32ILb0ELm128ELm5ELl32EEvPKfS1_S1_iiiiPfiiil,comdat
	.globl	_ZL23ssm_conv_long_token_f32ILb0ELm128ELm5ELl32EEvPKfS1_S1_iiiiPfiiil ; -- Begin function _ZL23ssm_conv_long_token_f32ILb0ELm128ELm5ELl32EEvPKfS1_S1_iiiiPfiiil
	.p2align	8
	.type	_ZL23ssm_conv_long_token_f32ILb0ELm128ELm5ELl32EEvPKfS1_S1_iiiiPfiiil,@function
_ZL23ssm_conv_long_token_f32ILb0ELm128ELm5ELl32EEvPKfS1_S1_iiiiPfiiil: ; @_ZL23ssm_conv_long_token_f32ILb0ELm128ELm5ELl32EEvPKfS1_S1_iiiiPfiiil
; %bb.0:
	s_load_dwordx4 s[8:11], s[0:1], 0x18
	s_load_dwordx2 s[12:13], s[0:1], 0x0
	s_mov_b32 s6, s3
	v_mul_u32_u24_e32 v1, 0x71d, v0
	v_lshrrev_b32_e32 v1, 16, v1
	s_waitcnt lgkmcnt(0)
	s_mul_i32 s3, s10, s2
	s_ashr_i32 s5, s3, 31
	s_add_u32 s3, s12, s3
	s_addc_u32 s5, s13, s5
	s_ashr_i32 s7, s6, 31
	s_lshl_b64 s[12:13], s[6:7], 7
	s_ashr_i32 s10, s9, 31
	s_mul_i32 s10, s12, s10
	s_mul_hi_u32 s14, s12, s9
	s_lshr_b64 s[6:7], s[6:7], 25
	s_add_i32 s10, s14, s10
	s_mul_i32 s6, s6, s9
	s_add_i32 s10, s10, s6
	s_mul_i32 s6, s12, s9
	s_add_u32 s3, s3, s6
	s_addc_u32 s6, s5, s10
	s_ashr_i32 s5, s4, 31
	s_lshl_b64 s[14:15], s[4:5], 5
	s_ashr_i32 s7, s8, 31
	s_mul_i32 s7, s14, s7
	s_mul_hi_u32 s10, s14, s8
	s_lshr_b64 s[4:5], s[4:5], 27
	s_add_i32 s7, s10, s7
	s_mul_i32 s4, s4, s8
	s_add_i32 s7, s7, s4
	s_mul_i32 s4, s14, s8
	s_add_u32 s16, s3, s4
	v_mul_lo_u16_e32 v2, 36, v1
	s_addc_u32 s17, s6, s7
	s_ashr_i32 s3, s9, 2
	v_sub_u16_e32 v2, v0, v2
	v_mad_u64_u32 v[4:5], s[4:5], s3, v1, v[2:3]
	v_ashrrev_i32_e32 v5, 31, v4
	v_lshl_add_u64 v[4:5], v[4:5], 2, s[16:17]
	global_load_dword v13, v[4:5], off
	v_or_b32_e32 v3, 0x80, v2
	v_mul_lo_u16_e32 v4, 57, v3
	v_lshrrev_b16_e32 v4, 11, v4
	v_add_u32_e32 v22, v1, v4
	v_mul_lo_u16_e32 v4, 36, v4
	v_sub_u16_e32 v3, v3, v4
	v_and_b32_e32 v8, 0xff, v3
	v_or_b32_e32 v3, 0x80, v8
	v_mul_lo_u16_e32 v6, 57, v3
	v_lshrrev_b16_e32 v6, 11, v6
	v_add_u32_e32 v23, v22, v6
	v_mul_lo_u16_e32 v6, 36, v6
	v_sub_u16_e32 v3, v3, v6
	v_and_b32_e32 v10, 0xff, v3
	v_or_b32_e32 v3, 0x80, v10
	v_mad_u64_u32 v[4:5], s[4:5], v22, s3, v[8:9]
	v_mul_lo_u16_e32 v9, 57, v3
	v_lshrrev_b16_e32 v9, 11, v9
	v_add_u32_e32 v24, v23, v9
	v_mul_lo_u16_e32 v9, 36, v9
	v_sub_u16_e32 v3, v3, v9
	v_and_b32_e32 v12, 0xff, v3
	v_ashrrev_i32_e32 v5, 31, v4
	v_mad_u64_u32 v[6:7], s[4:5], v23, s3, v[10:11]
	v_lshl_add_u64 v[4:5], v[4:5], 2, s[16:17]
	v_ashrrev_i32_e32 v7, 31, v6
	v_or_b32_e32 v3, 0x80, v12
	v_lshl_add_u64 v[6:7], v[6:7], 2, s[16:17]
	v_mul_u32_u24_e32 v1, 0x90, v1
	v_lshlrev_b32_e32 v2, 2, v2
	v_add3_u32 v29, 0, v1, v2
	v_lshlrev_b32_e32 v8, 2, v8
	v_lshlrev_b32_e32 v10, 2, v10
	s_movk_i32 s7, 0x90
	s_movk_i32 s6, 0x80
	s_waitcnt vmcnt(0)
	v_mad_u64_u32 v[14:15], s[4:5], v24, s3, v[12:13]
	v_ashrrev_i32_e32 v15, 31, v14
	v_lshl_add_u64 v[14:15], v[14:15], 2, s[16:17]
	global_load_dword v25, v[4:5], off
	global_load_dword v26, v[6:7], off
	;; [unrolled: 1-line block ×3, first 2 shown]
	v_mul_lo_u16_e32 v4, 57, v3
	v_lshrrev_b16_e32 v4, 11, v4
	v_add_u32_e32 v15, v24, v4
	v_mul_lo_u16_e32 v4, 36, v4
	v_sub_u16_e32 v3, v3, v4
	v_and_b32_e32 v14, 0xff, v3
	v_or_b32_e32 v2, 0x80, v14
	v_mul_lo_u16_e32 v1, 57, v2
	v_lshrrev_b16_e32 v3, 11, v1
	v_mad_u64_u32 v[4:5], s[4:5], v15, s3, v[14:15]
	v_add_u32_e32 v1, v15, v3
	v_mul_lo_u16_e32 v3, 36, v3
	v_ashrrev_i32_e32 v5, 31, v4
	v_sub_u16_e32 v2, v2, v3
	v_lshl_add_u64 v[4:5], v[4:5], 2, s[16:17]
	v_and_b32_e32 v2, 0xff, v2
	global_load_dword v28, v[4:5], off
	v_mad_u64_u32 v[4:5], s[4:5], v1, s3, v[2:3]
	v_ashrrev_i32_e32 v5, 31, v4
	v_lshl_add_u64 v[16:17], v[4:5], 2, s[16:17]
	v_or_b32_e32 v4, 0x80, v2
	v_mul_lo_u16_e32 v3, 57, v4
	v_lshrrev_b16_e32 v5, 11, v3
	v_add_u32_e32 v3, v1, v5
	v_mul_lo_u16_e32 v5, 36, v5
	v_sub_u16_e32 v4, v4, v5
	v_and_b32_e32 v4, 0xff, v4
	v_mad_u64_u32 v[6:7], s[4:5], v3, s3, v[4:5]
	v_ashrrev_i32_e32 v7, 31, v6
	v_lshl_add_u64 v[18:19], v[6:7], 2, s[16:17]
	v_or_b32_e32 v6, 0x80, v4
	v_mul_lo_u16_e32 v5, 57, v6
	v_lshrrev_b16_e32 v7, 11, v5
	v_add_u32_e32 v5, v3, v7
	v_mul_lo_u16_e32 v7, 36, v7
	v_sub_u16_e32 v6, v6, v7
	v_and_b32_e32 v6, 0xff, v6
	v_mad_u64_u32 v[20:21], s[4:5], v5, s3, v[6:7]
	v_ashrrev_i32_e32 v21, 31, v20
	v_lshl_add_u64 v[20:21], v[20:21], 2, s[16:17]
	global_load_dword v11, v[16:17], off
	global_load_dword v9, v[18:19], off
	;; [unrolled: 1-line block ×3, first 2 shown]
	ds_write_b32 v29, v13
	v_mul_u32_u24_e32 v13, 0x90, v22
	v_add3_u32 v8, 0, v13, v8
	v_lshlrev_b32_e32 v2, 2, v2
	v_mul_u32_u24_e32 v1, 0x90, v1
	v_add3_u32 v1, 0, v1, v2
	v_lshlrev_b32_e32 v2, 2, v4
	s_waitcnt vmcnt(6)
	ds_write_b32 v8, v25
	v_mul_u32_u24_e32 v8, 0x90, v23
	v_add3_u32 v8, 0, v8, v10
	s_waitcnt vmcnt(5)
	ds_write_b32 v8, v26
	v_mul_u32_u24_e32 v8, 0x90, v24
	v_lshlrev_b32_e32 v10, 2, v12
	v_add3_u32 v8, 0, v8, v10
	s_waitcnt vmcnt(4)
	ds_write_b32 v8, v27
	v_mul_u32_u24_e32 v8, 0x90, v15
	v_lshlrev_b32_e32 v10, 2, v14
	v_add3_u32 v8, 0, v8, v10
	s_waitcnt vmcnt(3)
	ds_write_b32 v8, v28
	v_or_b32_e32 v8, 0x80, v6
	v_mul_lo_u16_e32 v10, 57, v8
	v_lshrrev_b16_e32 v10, 11, v10
	v_add_u32_e32 v40, v5, v10
	v_mul_lo_u16_e32 v10, 36, v10
	v_sub_u16_e32 v8, v8, v10
	v_and_b32_e32 v8, 0xff, v8
	v_or_b32_e32 v10, 0x80, v8
	s_waitcnt vmcnt(1)
	v_mad_u64_u32 v[12:13], s[4:5], v40, s3, v[8:9]
	v_ashrrev_i32_e32 v13, 31, v12
	v_lshl_add_u64 v[24:25], v[12:13], 2, s[16:17]
	v_mul_lo_u16_e32 v12, 57, v10
	v_lshrrev_b16_e32 v12, 11, v12
	v_add_u32_e32 v41, v40, v12
	v_mul_lo_u16_e32 v12, 36, v12
	v_sub_u16_e32 v10, v10, v12
	v_and_b32_e32 v10, 0xff, v10
	v_mad_u64_u32 v[12:13], s[4:5], v41, s3, v[10:11]
	v_ashrrev_i32_e32 v13, 31, v12
	v_lshl_add_u64 v[26:27], v[12:13], 2, s[16:17]
	v_or_b32_e32 v12, 0x80, v10
	v_mul_lo_u16_e32 v13, 57, v12
	v_lshrrev_b16_e32 v13, 11, v13
	v_add_u32_e32 v42, v41, v13
	v_mul_lo_u16_e32 v13, 36, v13
	v_sub_u16_e32 v12, v12, v13
	v_and_b32_e32 v12, 0xff, v12
	v_mad_u64_u32 v[14:15], s[4:5], v42, s3, v[12:13]
	v_ashrrev_i32_e32 v15, 31, v14
	v_or_b32_e32 v13, 0x80, v12
	v_lshl_add_u64 v[28:29], v[14:15], 2, s[16:17]
	v_mul_lo_u16_e32 v14, 57, v13
	v_lshrrev_b16_e32 v14, 11, v14
	v_add_u32_e32 v15, v42, v14
	v_mul_lo_u16_e32 v14, 36, v14
	v_sub_u16_e32 v13, v13, v14
	v_and_b32_e32 v14, 0xff, v13
	v_mad_u64_u32 v[16:17], s[4:5], v15, s3, v[14:15]
	v_ashrrev_i32_e32 v17, 31, v16
	v_or_b32_e32 v13, 0x80, v14
	v_lshl_add_u64 v[30:31], v[16:17], 2, s[16:17]
	;; [unrolled: 10-line block ×5, first 2 shown]
	v_mul_lo_u16_e32 v22, 57, v13
	v_lshrrev_b16_e32 v22, 11, v22
	v_add_u32_e32 v23, v21, v22
	v_mul_lo_u16_e32 v22, 36, v22
	v_sub_u16_e32 v13, v13, v22
	v_and_b32_e32 v22, 0xff, v13
	v_mad_u64_u32 v[38:39], s[4:5], v23, s3, v[22:23]
	v_ashrrev_i32_e32 v39, 31, v38
	v_lshl_add_u64 v[38:39], v[38:39], 2, s[16:17]
	global_load_dword v13, v[24:25], off
	global_load_dword v43, v[26:27], off
	;; [unrolled: 1-line block ×8, first 2 shown]
	v_or_b32_e32 v24, 0x80, v22
	v_mul_lo_u16_e32 v25, 57, v24
	v_lshrrev_b16_e32 v25, 11, v25
	v_add_u32_e32 v29, v23, v25
	v_mul_lo_u16_e32 v25, 36, v25
	v_sub_u16_e32 v24, v24, v25
	v_and_b32_e32 v24, 0xff, v24
	v_mad_u64_u32 v[26:27], s[4:5], v29, s3, v[24:25]
	v_or_b32_e32 v25, 0x80, v24
	v_mul_lo_u16_e32 v28, 57, v25
	v_lshrrev_b16_e32 v28, 11, v28
	v_add_u32_e32 v33, v29, v28
	v_mul_lo_u16_e32 v28, 36, v28
	v_sub_u16_e32 v25, v25, v28
	v_and_b32_e32 v28, 0xff, v25
	v_or_b32_e32 v25, 0x80, v28
	v_mul_lo_u16_e32 v32, 57, v25
	v_lshrrev_b16_e32 v32, 11, v32
	v_add_u32_e32 v36, v33, v32
	v_mul_lo_u16_e32 v32, 36, v32
	v_sub_u16_e32 v25, v25, v32
	v_and_b32_e32 v32, 0xff, v25
	v_ashrrev_i32_e32 v27, 31, v26
	v_mad_u64_u32 v[30:31], s[4:5], v33, s3, v[28:29]
	v_mad_u64_u32 v[34:35], s[4:5], v36, s3, v[32:33]
	v_lshl_add_u64 v[26:27], v[26:27], 2, s[16:17]
	v_ashrrev_i32_e32 v31, 31, v30
	v_ashrrev_i32_e32 v35, 31, v34
	v_lshl_add_u64 v[30:31], v[30:31], 2, s[16:17]
	v_lshl_add_u64 v[34:35], v[34:35], 2, s[16:17]
	global_load_dword v25, v[26:27], off
	global_load_dword v37, v[30:31], off
	;; [unrolled: 1-line block ×3, first 2 shown]
	v_or_b32_e32 v26, 0x80, v32
	v_mul_lo_u16_e32 v27, 57, v26
	v_lshrrev_b16_e32 v27, 11, v27
	v_add_u32_e32 v34, v36, v27
	v_mul_lo_u16_e32 v27, 36, v27
	v_sub_u16_e32 v26, v26, v27
	v_and_b32_e32 v26, 0xff, v26
	v_mad_u64_u32 v[30:31], s[4:5], v34, s3, v[26:27]
	v_ashrrev_i32_e32 v31, 31, v30
	v_lshl_add_u64 v[30:31], v[30:31], 2, s[16:17]
	global_load_dword v27, v[30:31], off
	ds_write_b32 v1, v11
	v_mul_lo_u32 v1, v3, s7
	v_add3_u32 v1, 0, v1, v2
	ds_write_b32 v1, v9
	v_mul_lo_u32 v1, v5, s7
	v_lshlrev_b32_e32 v2, 2, v6
	v_add3_u32 v1, 0, v1, v2
	s_waitcnt vmcnt(12)
	ds_write_b32 v1, v7
	v_mul_lo_u32 v1, v40, s7
	v_lshlrev_b32_e32 v2, 2, v8
	v_add3_u32 v1, 0, v1, v2
	v_lshlrev_b32_e32 v2, 2, v10
	s_waitcnt vmcnt(11)
	ds_write_b32 v1, v13
	v_mul_lo_u32 v1, v41, s7
	v_add3_u32 v1, 0, v1, v2
	s_waitcnt vmcnt(10)
	ds_write_b32 v1, v43
	v_mul_lo_u32 v1, v42, s7
	v_lshlrev_b32_e32 v2, 2, v12
	v_add3_u32 v1, 0, v1, v2
	s_waitcnt vmcnt(9)
	ds_write_b32 v1, v44
	v_mul_lo_u32 v1, v15, s7
	v_lshlrev_b32_e32 v2, 2, v14
	;; [unrolled: 5-line block ×7, first 2 shown]
	v_add3_u32 v1, 0, v1, v2
	v_lshlrev_b32_e32 v2, 2, v28
	s_waitcnt vmcnt(3)
	ds_write_b32 v1, v25
	v_mul_lo_u32 v1, v33, s7
	v_add3_u32 v1, 0, v1, v2
	s_waitcnt vmcnt(2)
	ds_write_b32 v1, v37
	v_mul_lo_u32 v1, v36, s7
	v_lshlrev_b32_e32 v2, 2, v32
	v_add3_u32 v1, 0, v1, v2
	s_waitcnt vmcnt(1)
	ds_write_b32 v1, v38
	v_mul_lo_u32 v1, v34, s7
	v_lshlrev_b32_e32 v2, 2, v26
	v_add3_u32 v1, 0, v1, v2
	v_or_b32_e32 v2, 0x80, v26
	s_waitcnt vmcnt(0)
	ds_write_b32 v1, v27
	v_mul_lo_u16_e32 v1, 57, v2
	v_lshrrev_b16_e32 v3, 11, v1
	v_add_u32_e32 v1, v34, v3
	v_mul_lo_u16_e32 v3, 36, v3
	v_sub_u16_e32 v2, v2, v3
	v_and_b32_e32 v2, 0xff, v2
	v_cmp_gt_u32_e32 vcc, s6, v1
	s_and_saveexec_b64 s[4:5], vcc
	s_cbranch_execz .LBB15_2
; %bb.1:
	v_mad_u64_u32 v[4:5], s[8:9], v1, s3, v[2:3]
	v_ashrrev_i32_e32 v5, 31, v4
	v_lshl_add_u64 v[4:5], v[4:5], 2, s[16:17]
	global_load_dword v3, v[4:5], off
	v_mul_lo_u32 v4, v1, s7
	v_lshlrev_b32_e32 v5, 2, v2
	v_add3_u32 v4, 0, v4, v5
	s_waitcnt vmcnt(0)
	ds_write_b32 v4, v3
.LBB15_2:
	s_or_b64 exec, exec, s[4:5]
	v_or_b32_e32 v2, 0x80, v2
	v_mul_lo_u16_e32 v3, 57, v2
	v_lshrrev_b16_e32 v3, 11, v3
	v_add_u32_e32 v1, v1, v3
	v_mul_lo_u16_e32 v3, 36, v3
	v_sub_u16_e32 v2, v2, v3
	v_and_b32_e32 v2, 0xff, v2
	v_cmp_gt_u32_e32 vcc, s6, v1
	s_and_saveexec_b64 s[4:5], vcc
	s_cbranch_execz .LBB15_4
; %bb.3:
	v_mad_u64_u32 v[4:5], s[6:7], v1, s3, v[2:3]
	v_ashrrev_i32_e32 v5, 31, v4
	v_lshl_add_u64 v[4:5], v[4:5], 2, s[16:17]
	global_load_dword v3, v[4:5], off
	s_movk_i32 s6, 0x90
	v_mul_lo_u32 v4, v1, s6
	v_lshlrev_b32_e32 v5, 2, v2
	v_add3_u32 v4, 0, v4, v5
	s_waitcnt vmcnt(0)
	ds_write_b32 v4, v3
.LBB15_4:
	s_or_b64 exec, exec, s[4:5]
	v_or_b32_e32 v2, 0x80, v2
	v_mul_lo_u16_e32 v3, 57, v2
	v_lshrrev_b16_e32 v3, 11, v3
	v_add_u32_e32 v1, v1, v3
	v_mul_lo_u16_e32 v3, 36, v3
	s_movk_i32 s6, 0x80
	v_sub_u16_e32 v2, v2, v3
	v_and_b32_e32 v2, 0xff, v2
	v_cmp_gt_u32_e32 vcc, s6, v1
	s_and_saveexec_b64 s[4:5], vcc
	s_cbranch_execz .LBB15_6
; %bb.5:
	v_mad_u64_u32 v[4:5], s[8:9], v1, s3, v[2:3]
	v_ashrrev_i32_e32 v5, 31, v4
	v_lshl_add_u64 v[4:5], v[4:5], 2, s[16:17]
	global_load_dword v3, v[4:5], off
	s_movk_i32 s7, 0x90
	v_mul_lo_u32 v4, v1, s7
	v_lshlrev_b32_e32 v5, 2, v2
	v_add3_u32 v4, 0, v4, v5
	s_waitcnt vmcnt(0)
	ds_write_b32 v4, v3
.LBB15_6:
	s_or_b64 exec, exec, s[4:5]
	v_or_b32_e32 v2, 0x80, v2
	v_mul_lo_u16_e32 v3, 57, v2
	v_lshrrev_b16_e32 v3, 11, v3
	v_add_u32_e32 v1, v1, v3
	v_mul_lo_u16_e32 v3, 36, v3
	v_sub_u16_e32 v2, v2, v3
	v_and_b32_e32 v2, 0xff, v2
	v_cmp_gt_u32_e32 vcc, s6, v1
	s_and_saveexec_b64 s[4:5], vcc
	s_cbranch_execz .LBB15_8
; %bb.7:
	v_mad_u64_u32 v[4:5], s[6:7], v1, s3, v[2:3]
	v_ashrrev_i32_e32 v5, 31, v4
	v_lshl_add_u64 v[4:5], v[4:5], 2, s[16:17]
	global_load_dword v3, v[4:5], off
	s_movk_i32 s6, 0x90
	v_mul_lo_u32 v4, v1, s6
	v_lshlrev_b32_e32 v5, 2, v2
	v_add3_u32 v4, 0, v4, v5
	s_waitcnt vmcnt(0)
	ds_write_b32 v4, v3
.LBB15_8:
	s_or_b64 exec, exec, s[4:5]
	v_or_b32_e32 v2, 0x80, v2
	v_mul_lo_u16_e32 v3, 57, v2
	v_lshrrev_b16_e32 v3, 11, v3
	v_add_u32_e32 v1, v1, v3
	v_mul_lo_u16_e32 v3, 36, v3
	s_movk_i32 s6, 0x80
	v_sub_u16_e32 v2, v2, v3
	v_and_b32_e32 v2, 0xff, v2
	v_cmp_gt_u32_e32 vcc, s6, v1
	s_and_saveexec_b64 s[4:5], vcc
	s_cbranch_execz .LBB15_10
; %bb.9:
	v_mad_u64_u32 v[4:5], s[8:9], v1, s3, v[2:3]
	v_ashrrev_i32_e32 v5, 31, v4
	v_lshl_add_u64 v[4:5], v[4:5], 2, s[16:17]
	global_load_dword v3, v[4:5], off
	s_movk_i32 s7, 0x90
	v_mul_lo_u32 v4, v1, s7
	v_lshlrev_b32_e32 v5, 2, v2
	v_add3_u32 v4, 0, v4, v5
	s_waitcnt vmcnt(0)
	ds_write_b32 v4, v3
.LBB15_10:
	;; [unrolled: 47-line block ×4, first 2 shown]
	s_or_b64 exec, exec, s[4:5]
	s_load_dwordx4 s[4:7], s[0:1], 0x8
	s_load_dwordx2 s[8:9], s[0:1], 0x28
	s_movk_i32 s10, 0x380
	v_cmp_gt_u32_e32 vcc, s10, v0
	s_and_saveexec_b64 s[18:19], vcc
	s_cbranch_execz .LBB15_39
; %bb.19:
	v_or_b32_e32 v2, 0x80, v2
	v_mul_lo_u16_e32 v3, 57, v2
	v_lshrrev_b16_e32 v3, 11, v3
	v_add_u32_e32 v1, v1, v3
	v_mul_lo_u16_e32 v3, 36, v3
	s_movk_i32 s10, 0x80
	v_sub_u16_e32 v2, v2, v3
	v_and_b32_e32 v2, 0xff, v2
	v_cmp_gt_u32_e32 vcc, s10, v1
	s_and_saveexec_b64 s[20:21], vcc
	s_cbranch_execz .LBB15_21
; %bb.20:
	v_mad_u64_u32 v[4:5], s[22:23], v1, s3, v[2:3]
	v_ashrrev_i32_e32 v5, 31, v4
	v_lshl_add_u64 v[4:5], v[4:5], 2, s[16:17]
	global_load_dword v3, v[4:5], off
	s_movk_i32 s10, 0x90
	v_mul_lo_u32 v4, v1, s10
	v_lshlrev_b32_e32 v5, 2, v2
	v_add3_u32 v4, 0, v4, v5
	s_waitcnt vmcnt(0)
	ds_write_b32 v4, v3
.LBB15_21:
	s_or_b64 exec, exec, s[20:21]
	s_movk_i32 s10, 0x300
	v_cmp_gt_u32_e32 vcc, s10, v0
	s_and_b64 exec, exec, vcc
	s_cbranch_execz .LBB15_39
; %bb.22:
	v_or_b32_e32 v2, 0x80, v2
	v_mul_lo_u16_e32 v3, 57, v2
	v_lshrrev_b16_e32 v3, 11, v3
	v_add_u32_e32 v1, v1, v3
	v_mul_lo_u16_e32 v3, 36, v3
	s_movk_i32 s10, 0x80
	v_sub_u16_e32 v2, v2, v3
	v_and_b32_e32 v2, 0xff, v2
	v_cmp_gt_u32_e32 vcc, s10, v1
	s_and_saveexec_b64 s[20:21], vcc
	s_cbranch_execz .LBB15_24
; %bb.23:
	v_mad_u64_u32 v[4:5], s[22:23], v1, s3, v[2:3]
	v_ashrrev_i32_e32 v5, 31, v4
	v_lshl_add_u64 v[4:5], v[4:5], 2, s[16:17]
	global_load_dword v3, v[4:5], off
	s_movk_i32 s10, 0x90
	v_mul_lo_u32 v4, v1, s10
	v_lshlrev_b32_e32 v5, 2, v2
	v_add3_u32 v4, 0, v4, v5
	s_waitcnt vmcnt(0)
	ds_write_b32 v4, v3
.LBB15_24:
	s_or_b64 exec, exec, s[20:21]
	s_movk_i32 s10, 0x280
	v_cmp_gt_u32_e32 vcc, s10, v0
	s_and_b64 exec, exec, vcc
	;; [unrolled: 29-line block ×5, first 2 shown]
	s_cbranch_execz .LBB15_39
; %bb.34:
	v_or_b32_e32 v2, 0x80, v2
	v_mul_lo_u16_e32 v3, 57, v2
	v_lshrrev_b16_e32 v3, 11, v3
	v_add_u32_e32 v1, v1, v3
	v_mul_lo_u16_e32 v3, 36, v3
	s_movk_i32 s10, 0x80
	v_sub_u16_e32 v2, v2, v3
	v_and_b32_e32 v2, 0xff, v2
	v_cmp_gt_u32_e32 vcc, s10, v1
	s_and_saveexec_b64 s[20:21], vcc
	s_cbranch_execz .LBB15_36
; %bb.35:
	v_mad_u64_u32 v[4:5], s[22:23], v1, s3, v[2:3]
	v_ashrrev_i32_e32 v5, 31, v4
	v_lshl_add_u64 v[4:5], v[4:5], 2, s[16:17]
	global_load_dword v3, v[4:5], off
	s_movk_i32 s22, 0x90
	v_mul_lo_u32 v4, v1, s22
	v_lshlrev_b32_e32 v5, 2, v2
	v_add3_u32 v4, 0, v4, v5
	s_waitcnt vmcnt(0)
	ds_write_b32 v4, v3
.LBB15_36:
	s_or_b64 exec, exec, s[20:21]
	v_cmp_gt_u32_e32 vcc, s10, v0
	s_and_b64 exec, exec, vcc
	s_cbranch_execz .LBB15_39
; %bb.37:
	v_or_b32_e32 v2, 0x80, v2
	v_mul_lo_u16_e32 v3, 57, v2
	v_lshrrev_b16_e32 v3, 11, v3
	v_add_u32_e32 v1, v1, v3
	v_cmp_gt_u32_e32 vcc, s10, v1
	s_and_b64 exec, exec, vcc
	s_cbranch_execz .LBB15_39
; %bb.38:
	v_mul_lo_u16_e32 v3, 36, v3
	v_sub_u16_e32 v2, v2, v3
	v_and_b32_e32 v2, 0xff, v2
	v_mad_u64_u32 v[4:5], s[20:21], v1, s3, v[2:3]
	v_ashrrev_i32_e32 v5, 31, v4
	v_lshl_add_u64 v[4:5], v[4:5], 2, s[16:17]
	global_load_dword v3, v[4:5], off
	s_movk_i32 s3, 0x90
	v_mul_lo_u32 v1, v1, s3
	v_lshlrev_b32_e32 v2, 2, v2
	v_add3_u32 v1, 0, v1, v2
	s_waitcnt vmcnt(0)
	ds_write_b32 v1, v3
.LBB15_39:
	s_or_b64 exec, exec, s[18:19]
	s_ashr_i32 s3, s11, 31
	s_mul_hi_u32 s10, s12, s11
	s_mul_i32 s3, s12, s3
	s_add_i32 s3, s10, s3
	s_mul_i32 s10, s13, s11
	s_add_i32 s3, s3, s10
	s_mul_i32 s10, s12, s11
	s_waitcnt lgkmcnt(0)
	s_add_u32 s4, s4, s10
	s_addc_u32 s5, s5, s3
	s_ashr_i32 s3, s11, 2
	v_mul_lo_u32 v2, s3, v0
	v_ashrrev_i32_e32 v3, 31, v2
	v_lshl_add_u64 v[8:9], v[2:3], 2, s[4:5]
	s_barrier
	global_load_dword v7, v[8:9], off offset:16
	global_load_dwordx4 v[2:5], v[8:9], off
	s_cmp_eq_u64 s[6:7], 0
	v_lshlrev_b32_e32 v12, 2, v0
	s_cbranch_scc1 .LBB15_41
; %bb.40:
	s_lshl_b64 s[4:5], s[12:13], 2
	s_add_u32 s4, s6, s4
	s_addc_u32 s5, s7, s5
	global_load_dword v8, v12, s[4:5]
	s_branch .LBB15_42
.LBB15_41:
	v_mov_b32_e32 v8, 0
.LBB15_42:
	s_load_dwordx2 s[4:5], s[0:1], 0x40
	s_waitcnt lgkmcnt(0)
	s_sub_u32 s6, s4, s14
	s_subb_u32 s7, s5, s15
	v_cmp_lt_i64_e64 s[4:5], s[6:7], 1
	s_and_b64 vcc, exec, s[4:5]
	s_cbranch_vccnz .LBB15_50
; %bb.43:
	s_load_dwordx4 s[16:19], s[0:1], 0x30
	v_cmp_lt_u64_e64 s[4:5], s[6:7], 32
	s_waitcnt vmcnt(0)
	v_mov_b32_e32 v10, v3
	v_mov_b32_e32 v11, v4
	;; [unrolled: 1-line block ×3, first 2 shown]
	s_waitcnt lgkmcnt(0)
	s_ashr_i32 s0, s17, 31
	s_mul_hi_u32 s1, s14, s17
	s_mul_i32 s0, s14, s0
	s_add_i32 s0, s1, s0
	s_mul_i32 s1, s15, s17
	s_add_i32 s15, s0, s1
	s_ashr_i32 s0, s16, 31
	s_mul_hi_u32 s1, s12, s16
	s_mul_i32 s0, s12, s0
	s_mul_i32 s10, s18, s2
	s_add_i32 s0, s1, s0
	s_mul_i32 s1, s13, s16
	s_ashr_i32 s11, s10, 31
	s_add_i32 s13, s0, s1
	s_ashr_i32 s0, s17, 2
	s_and_b64 s[4:5], s[4:5], exec
	s_cselect_b32 s5, s7, 0
	s_cselect_b32 s4, s6, 32
	s_cmp_eq_u64 s[6:7], 1
	s_cselect_b64 s[6:7], -1, 0
	s_cmp_lg_u32 s0, 1
	s_mul_i32 s14, s14, s17
	s_mul_i32 s12, s12, s16
	s_cselect_b64 s[16:17], -1, 0
	s_or_b64 s[6:7], s[6:7], s[16:17]
	v_mul_u32_u24_e32 v24, 0x90, v0
	v_mov_b32_e32 v13, 0
	s_mov_b32 s3, 0
	s_and_b64 vcc, exec, s[6:7]
	s_cbranch_vccnz .LBB15_47
; %bb.44:
	s_add_u32 s1, s8, s10
	s_addc_u32 s2, s9, s11
	v_add_u32_e32 v25, 0, v24
	s_add_u32 s1, s1, s14
	ds_read2_b32 v[22:23], v25 offset1:1
	s_addc_u32 s2, s2, s15
	s_add_u32 s6, s1, s12
	s_addc_u32 s7, s2, s13
	s_and_b32 s2, s4, 62
	v_lshl_add_u64 v[0:1], s[6:7], 0, v[12:13]
	v_mov_b32_e32 v14, v2
	v_mov_b32_e32 v15, v2
	;; [unrolled: 1-line block ×10, first 2 shown]
	s_mov_b64 s[6:7], s[2:3]
.LBB15_45:                              ; =>This Inner Loop Header: Depth=1
	s_waitcnt lgkmcnt(0)
	v_pk_fma_f32 v[26:27], v[14:15], v[22:23], 0 op_sel_hi:[1,1,0]
	ds_read2_b32 v[28:29], v25 offset0:1 offset1:2
	ds_read2_b32 v[22:23], v25 offset0:2 offset1:3
	;; [unrolled: 1-line block ×4, first 2 shown]
	s_add_u32 s6, s6, -2
	s_waitcnt lgkmcnt(3)
	v_pk_fma_f32 v[26:27], v[16:17], v[28:29], v[26:27]
	v_add_u32_e32 v3, 8, v25
	s_waitcnt lgkmcnt(2)
	v_pk_fma_f32 v[26:27], v[18:19], v[22:23], v[26:27]
	s_addc_u32 s7, s7, -1
	s_waitcnt lgkmcnt(1)
	v_pk_fma_f32 v[26:27], v[4:5], v[30:31], v[26:27]
	v_mov_b32_e32 v25, v3
	s_waitcnt lgkmcnt(0)
	v_pk_fma_f32 v[26:27], v[20:21], v[32:33], v[26:27]
	s_cmp_lg_u64 s[6:7], 0
	v_pk_add_f32 v[26:27], v[8:9], v[26:27]
	global_store_dwordx2 v[0:1], v[26:27], off
	v_lshl_add_u64 v[0:1], v[0:1], 0, 8
	s_cbranch_scc1 .LBB15_45
; %bb.46:
	s_cmp_lg_u64 s[4:5], s[2:3]
	s_cselect_b64 s[6:7], -1, 0
	s_and_b64 vcc, exec, s[6:7]
	s_cbranch_vccnz .LBB15_48
	s_branch .LBB15_50
.LBB15_47:
	s_mov_b64 s[2:3], 0
	s_cbranch_execz .LBB15_50
.LBB15_48:
	s_ashr_i32 s1, s0, 31
	s_sub_u32 s4, s4, s2
	s_subb_u32 s5, s5, s3
	s_add_u32 s3, s12, s14
	s_mul_hi_i32 s7, s2, s0
	s_mul_i32 s6, s2, s0
	s_addc_u32 s12, s13, s15
	s_lshl_b64 s[6:7], s[6:7], 2
	s_add_u32 s3, s3, s6
	s_addc_u32 s7, s12, s7
	s_add_u32 s6, s8, s10
	s_addc_u32 s8, s9, s11
	;; [unrolled: 2-line block ×3, first 2 shown]
	s_lshl_b32 s2, s2, 2
	s_add_i32 s2, s2, 0
	v_add_u32_e32 v3, s2, v24
	ds_read_b32 v0, v3
	v_mov_b32_e32 v13, 0
	v_lshl_add_u64 v[4:5], s[6:7], 0, v[12:13]
	s_lshl_b64 s[0:1], s[0:1], 2
.LBB15_49:                              ; =>This Inner Loop Header: Depth=1
	s_waitcnt lgkmcnt(0)
	v_fma_f32 v9, v2, v0, 0
	ds_read2_b32 v[0:1], v3 offset0:1 offset1:2
	ds_read2_b32 v[12:13], v3 offset0:3 offset1:4
	v_add_u32_e32 v14, 4, v3
	v_mov_b32_e32 v3, v14
	s_add_u32 s4, s4, -1
	s_waitcnt lgkmcnt(1)
	v_pk_mul_f32 v[14:15], v[10:11], v[0:1]
	s_waitcnt lgkmcnt(0)
	v_pk_mul_f32 v[12:13], v[6:7], v[12:13]
	v_add_f32_e32 v1, v9, v14
	v_add_f32_e32 v1, v1, v15
	;; [unrolled: 1-line block ×4, first 2 shown]
	s_addc_u32 s5, s5, -1
	v_add_f32_e32 v1, v8, v1
	s_cmp_lg_u64 s[4:5], 0
	global_store_dword v[4:5], v1, off
	v_lshl_add_u64 v[4:5], v[4:5], 0, s[0:1]
	s_cbranch_scc1 .LBB15_49
.LBB15_50:
	s_endpgm
	.section	.rodata,"a",@progbits
	.p2align	6, 0x0
	.amdhsa_kernel _ZL23ssm_conv_long_token_f32ILb0ELm128ELm5ELl32EEvPKfS1_S1_iiiiPfiiil
		.amdhsa_group_segment_fixed_size 0
		.amdhsa_private_segment_fixed_size 0
		.amdhsa_kernarg_size 72
		.amdhsa_user_sgpr_count 2
		.amdhsa_user_sgpr_dispatch_ptr 0
		.amdhsa_user_sgpr_queue_ptr 0
		.amdhsa_user_sgpr_kernarg_segment_ptr 1
		.amdhsa_user_sgpr_dispatch_id 0
		.amdhsa_user_sgpr_kernarg_preload_length 0
		.amdhsa_user_sgpr_kernarg_preload_offset 0
		.amdhsa_user_sgpr_private_segment_size 0
		.amdhsa_uses_dynamic_stack 0
		.amdhsa_enable_private_segment 0
		.amdhsa_system_sgpr_workgroup_id_x 1
		.amdhsa_system_sgpr_workgroup_id_y 1
		.amdhsa_system_sgpr_workgroup_id_z 1
		.amdhsa_system_sgpr_workgroup_info 0
		.amdhsa_system_vgpr_workitem_id 0
		.amdhsa_next_free_vgpr 50
		.amdhsa_next_free_sgpr 24
		.amdhsa_accum_offset 52
		.amdhsa_reserve_vcc 1
		.amdhsa_float_round_mode_32 0
		.amdhsa_float_round_mode_16_64 0
		.amdhsa_float_denorm_mode_32 3
		.amdhsa_float_denorm_mode_16_64 3
		.amdhsa_dx10_clamp 1
		.amdhsa_ieee_mode 1
		.amdhsa_fp16_overflow 0
		.amdhsa_tg_split 0
		.amdhsa_exception_fp_ieee_invalid_op 0
		.amdhsa_exception_fp_denorm_src 0
		.amdhsa_exception_fp_ieee_div_zero 0
		.amdhsa_exception_fp_ieee_overflow 0
		.amdhsa_exception_fp_ieee_underflow 0
		.amdhsa_exception_fp_ieee_inexact 0
		.amdhsa_exception_int_div_zero 0
	.end_amdhsa_kernel
	.section	.text._ZL23ssm_conv_long_token_f32ILb0ELm128ELm5ELl32EEvPKfS1_S1_iiiiPfiiil,"axG",@progbits,_ZL23ssm_conv_long_token_f32ILb0ELm128ELm5ELl32EEvPKfS1_S1_iiiiPfiiil,comdat
.Lfunc_end15:
	.size	_ZL23ssm_conv_long_token_f32ILb0ELm128ELm5ELl32EEvPKfS1_S1_iiiiPfiiil, .Lfunc_end15-_ZL23ssm_conv_long_token_f32ILb0ELm128ELm5ELl32EEvPKfS1_S1_iiiiPfiiil
                                        ; -- End function
	.set _ZL23ssm_conv_long_token_f32ILb0ELm128ELm5ELl32EEvPKfS1_S1_iiiiPfiiil.num_vgpr, 50
	.set _ZL23ssm_conv_long_token_f32ILb0ELm128ELm5ELl32EEvPKfS1_S1_iiiiPfiiil.num_agpr, 0
	.set _ZL23ssm_conv_long_token_f32ILb0ELm128ELm5ELl32EEvPKfS1_S1_iiiiPfiiil.numbered_sgpr, 24
	.set _ZL23ssm_conv_long_token_f32ILb0ELm128ELm5ELl32EEvPKfS1_S1_iiiiPfiiil.num_named_barrier, 0
	.set _ZL23ssm_conv_long_token_f32ILb0ELm128ELm5ELl32EEvPKfS1_S1_iiiiPfiiil.private_seg_size, 0
	.set _ZL23ssm_conv_long_token_f32ILb0ELm128ELm5ELl32EEvPKfS1_S1_iiiiPfiiil.uses_vcc, 1
	.set _ZL23ssm_conv_long_token_f32ILb0ELm128ELm5ELl32EEvPKfS1_S1_iiiiPfiiil.uses_flat_scratch, 0
	.set _ZL23ssm_conv_long_token_f32ILb0ELm128ELm5ELl32EEvPKfS1_S1_iiiiPfiiil.has_dyn_sized_stack, 0
	.set _ZL23ssm_conv_long_token_f32ILb0ELm128ELm5ELl32EEvPKfS1_S1_iiiiPfiiil.has_recursion, 0
	.set _ZL23ssm_conv_long_token_f32ILb0ELm128ELm5ELl32EEvPKfS1_S1_iiiiPfiiil.has_indirect_call, 0
	.section	.AMDGPU.csdata,"",@progbits
; Kernel info:
; codeLenInByte = 4852
; TotalNumSgprs: 30
; NumVgprs: 50
; NumAgprs: 0
; TotalNumVgprs: 50
; ScratchSize: 0
; MemoryBound: 0
; FloatMode: 240
; IeeeMode: 1
; LDSByteSize: 0 bytes/workgroup (compile time only)
; SGPRBlocks: 3
; VGPRBlocks: 6
; NumSGPRsForWavesPerEU: 30
; NumVGPRsForWavesPerEU: 50
; AccumOffset: 52
; Occupancy: 8
; WaveLimiterHint : 0
; COMPUTE_PGM_RSRC2:SCRATCH_EN: 0
; COMPUTE_PGM_RSRC2:USER_SGPR: 2
; COMPUTE_PGM_RSRC2:TRAP_HANDLER: 0
; COMPUTE_PGM_RSRC2:TGID_X_EN: 1
; COMPUTE_PGM_RSRC2:TGID_Y_EN: 1
; COMPUTE_PGM_RSRC2:TGID_Z_EN: 1
; COMPUTE_PGM_RSRC2:TIDIG_COMP_CNT: 0
; COMPUTE_PGM_RSRC3_GFX90A:ACCUM_OFFSET: 12
; COMPUTE_PGM_RSRC3_GFX90A:TG_SPLIT: 0
	.section	.text._ZL12ssm_conv_f32ILb0ELm128ELm9EEvPKfS1_S1_iiiiPfiiil,"axG",@progbits,_ZL12ssm_conv_f32ILb0ELm128ELm9EEvPKfS1_S1_iiiiPfiiil,comdat
	.globl	_ZL12ssm_conv_f32ILb0ELm128ELm9EEvPKfS1_S1_iiiiPfiiil ; -- Begin function _ZL12ssm_conv_f32ILb0ELm128ELm9EEvPKfS1_S1_iiiiPfiiil
	.p2align	8
	.type	_ZL12ssm_conv_f32ILb0ELm128ELm9EEvPKfS1_S1_iiiiPfiiil,@function
_ZL12ssm_conv_f32ILb0ELm128ELm9EEvPKfS1_S1_iiiiPfiiil: ; @_ZL12ssm_conv_f32ILb0ELm128ELm9EEvPKfS1_S1_iiiiPfiiil
; %bb.0:
	s_load_dwordx4 s[12:15], s[0:1], 0x1c
	s_load_dwordx4 s[4:7], s[0:1], 0x0
	s_load_dwordx2 s[10:11], s[0:1], 0x10
	s_mov_b32 s8, s3
	s_ashr_i32 s9, s3, 31
	s_lshl_b64 s[16:17], s[8:9], 7
	s_waitcnt lgkmcnt(0)
	s_ashr_i32 s3, s14, 31
	s_mul_i32 s3, s16, s3
	s_mul_hi_u32 s15, s16, s14
	s_lshr_b64 s[8:9], s[8:9], 25
	s_add_i32 s3, s15, s3
	s_mul_i32 s8, s8, s14
	s_add_i32 s3, s3, s8
	s_mul_i32 s8, s16, s14
	s_add_u32 s8, s6, s8
	s_addc_u32 s9, s7, s3
	s_cmp_eq_u64 s[10:11], 0
	v_lshlrev_b32_e32 v22, 2, v0
	s_cbranch_scc1 .LBB16_2
; %bb.1:
	s_lshl_b64 s[6:7], s[16:17], 2
	s_add_u32 s6, s10, s6
	s_addc_u32 s7, s11, s7
	global_load_dword v9, v22, s[6:7]
	s_load_dwordx2 s[6:7], s[0:1], 0x40
	s_waitcnt lgkmcnt(0)
	v_cmp_lt_i64_e64 s[10:11], s[6:7], 1
	s_and_b64 vcc, exec, s[10:11]
	s_cbranch_vccz .LBB16_3
	s_branch .LBB16_6
.LBB16_2:
	v_mov_b32_e32 v9, 0
	s_load_dwordx2 s[6:7], s[0:1], 0x40
	s_waitcnt lgkmcnt(0)
	v_cmp_lt_i64_e64 s[10:11], s[6:7], 1
	s_and_b64 vcc, exec, s[10:11]
	s_cbranch_vccnz .LBB16_6
.LBB16_3:
	s_ashr_i32 s3, s14, 2
	v_mul_lo_u32 v2, s3, v0
	v_ashrrev_i32_e32 v3, 31, v2
	v_lshl_add_u64 v[16:17], v[2:3], 2, s[8:9]
	global_load_dwordx4 v[24:27], v[16:17], off offset:16
	global_load_dwordx4 v[10:13], v[16:17], off
	s_load_dwordx2 s[14:15], s[0:1], 0x28
	s_load_dwordx4 s[8:11], s[0:1], 0x30
	s_ashr_i32 s0, s12, 31
	s_mul_hi_u32 s1, s16, s12
	s_mul_i32 s0, s16, s0
	s_mul_i32 s3, s13, s2
	s_add_i32 s0, s1, s0
	s_mul_i32 s1, s17, s12
	s_waitcnt lgkmcnt(0)
	s_mul_i32 s10, s10, s2
	s_ashr_i32 s11, s3, 31
	s_add_i32 s18, s0, s1
	s_ashr_i32 s13, s10, 31
	s_add_u32 s0, s14, s10
	s_addc_u32 s1, s15, s13
	s_ashr_i32 s2, s8, 31
	s_mul_hi_u32 s20, s16, s8
	s_mul_i32 s2, s16, s2
	s_add_i32 s2, s20, s2
	s_mul_i32 s17, s17, s8
	s_add_i32 s17, s2, s17
	s_mul_i32 s8, s16, s8
	s_add_u32 s0, s0, s8
	s_addc_u32 s1, s1, s17
	s_add_u32 s2, s4, s3
	s_mul_i32 s19, s16, s12
	s_addc_u32 s16, s5, s11
	s_add_u32 s20, s2, s19
	s_addc_u32 s21, s16, s18
	s_ashr_i32 s2, s12, 2
	v_mul_lo_u32 v20, s2, v0
	v_ashrrev_i32_e32 v21, 31, v20
	v_lshl_add_u64 v[18:19], v[20:21], 2, s[20:21]
	global_load_dwordx4 v[0:3], v[18:19], off
	global_load_dwordx4 v[4:7], v[18:19], off offset:16
	global_load_dword v8, v[18:19], off offset:32
	global_load_dword v15, v[16:17], off offset:32
	v_mov_b32_e32 v23, 0
	s_cmp_eq_u64 s[6:7], 1
	s_waitcnt vmcnt(5)
	v_mov_b32_e32 v18, v25
	s_waitcnt vmcnt(4)
	v_mov_b32_e32 v16, v11
	v_mov_b32_e32 v17, v12
	;; [unrolled: 1-line block ×6, first 2 shown]
	s_waitcnt vmcnt(3)
	v_pk_mov_b32 v[24:25], v[0:1], v[2:3] op_sel:[1,0]
	v_fma_f32 v11, v10, v0, 0
	v_pk_mul_f32 v[24:25], v[16:17], v[24:25]
	s_waitcnt vmcnt(2)
	v_pk_mov_b32 v[26:27], v[2:3], v[4:5] op_sel:[1,0]
	v_add_f32_e32 v11, v11, v24
	v_pk_mul_f32 v[26:27], v[12:13], v[26:27]
	v_add_f32_e32 v11, v11, v25
	v_pk_mov_b32 v[28:29], v[4:5], v[6:7] op_sel:[1,0]
	v_add_f32_e32 v11, v11, v26
	v_pk_mul_f32 v[28:29], v[18:19], v[28:29]
	v_add_f32_e32 v11, v11, v27
	v_mov_b32_e32 v30, v7
	s_waitcnt vmcnt(1)
	v_mov_b32_e32 v31, v8
	v_add_f32_e32 v11, v11, v28
	s_waitcnt vmcnt(0)
	v_pk_mul_f32 v[30:31], v[14:15], v[30:31]
	v_add_f32_e32 v11, v11, v29
	v_add_f32_e32 v11, v11, v30
	;; [unrolled: 1-line block ×4, first 2 shown]
	global_store_dword v22, v11, s[0:1]
	s_cbranch_scc1 .LBB16_6
; %bb.4:
	s_ashr_i32 s20, s9, 2
	s_ashr_i32 s21, s20, 31
	s_add_u32 s0, s6, -1
	s_addc_u32 s1, s7, -1
	s_add_u32 s2, s4, s3
	s_addc_u32 s3, s5, s11
	s_add_u32 s2, s2, s19
	s_addc_u32 s3, s3, s18
	v_lshl_add_u64 v[20:21], v[20:21], 2, s[2:3]
	s_lshl_b64 s[2:3], s[20:21], 2
	s_add_u32 s4, s8, s2
	s_addc_u32 s5, s17, s3
	s_add_u32 s6, s14, s10
	s_addc_u32 s7, s15, s13
	s_add_u32 s4, s6, s4
	s_addc_u32 s5, s7, s5
	v_lshl_add_u64 v[20:21], v[20:21], 0, 36
	v_lshl_add_u64 v[22:23], s[4:5], 0, v[22:23]
	s_mov_b64 s[4:5], 1
	s_mov_b64 s[6:7], 0
	;; [unrolled: 1-line block ×10, first 2 shown]
.LBB16_5:                               ; =>This Inner Loop Header: Depth=1
	s_mul_i32 s56, s5, 0x8e38e38f
	s_mul_hi_u32 s60, s4, 0x8e38e38f
	s_mul_hi_u32 s58, s5, 0x8e38e38f
	s_add_u32 s60, s56, s60
	s_mul_i32 s57, s4, 0xe38e38e3
	s_addc_u32 s63, s58, 0
	s_mul_hi_u32 s59, s4, 0xe38e38e3
	s_add_u32 s57, s57, s60
	s_addc_u32 s59, s59, 0
	s_add_u32 s59, s63, s59
	s_mul_i32 s62, s5, 0xe38e38e3
	s_addc_u32 s60, 0, 0
	s_mul_hi_u32 s61, s5, 0xe38e38e3
	s_add_u32 s62, s62, s59
	s_addc_u32 s63, s61, s60
	s_mul_i32 s67, s9, 0x8e38e38f
	s_mul_hi_u32 s68, s8, 0x8e38e38f
	s_lshr_b64 s[70:71], s[62:63], 3
	s_mul_hi_u32 s66, s9, 0x8e38e38f
	s_add_u32 s62, s67, s68
	s_mul_i32 s65, s8, 0xe38e38e3
	s_addc_u32 s66, s66, 0
	s_mul_hi_u32 s64, s8, 0xe38e38e3
	s_add_u32 s62, s65, s62
	s_addc_u32 s64, s64, 0
	s_add_u32 s64, s66, s64
	s_mul_i32 s72, s9, 0xe38e38e3
	s_addc_u32 s65, 0, 0
	global_load_dword v11, v[20:21], off
	s_mul_hi_u32 s69, s9, 0xe38e38e3
	s_add_u32 s66, s72, s64
	s_addc_u32 s67, s69, s65
	s_mul_i32 s77, s11, 0x8e38e38f
	s_mul_hi_u32 s78, s10, 0x8e38e38f
	s_lshr_b64 s[72:73], s[66:67], 3
	s_mul_hi_u32 s76, s11, 0x8e38e38f
	s_add_u32 s67, s77, s78
	s_mul_i32 s75, s10, 0xe38e38e3
	s_addc_u32 s69, s76, 0
	s_mul_hi_u32 s74, s10, 0xe38e38e3
	s_add_u32 s67, s75, s67
	s_addc_u32 s71, s74, 0
	s_add_u32 s69, s69, s71
	s_mul_i32 s80, s11, 0xe38e38e3
	s_addc_u32 s71, 0, 0
	s_mul_hi_u32 s79, s11, 0xe38e38e3
	s_add_u32 s74, s80, s69
	s_addc_u32 s75, s79, s71
	s_mul_i32 s27, s13, 0x8e38e38f
	s_mul_hi_u32 s28, s12, 0x8e38e38f
	s_mul_i32 s69, s70, 9
	s_lshr_b64 s[70:71], s[74:75], 3
	s_mul_hi_u32 s26, s13, 0x8e38e38f
	s_add_u32 s27, s27, s28
	s_mul_i32 s25, s12, 0xe38e38e3
	s_addc_u32 s26, s26, 0
	s_mul_hi_u32 s24, s12, 0xe38e38e3
	s_add_u32 s25, s25, s27
	s_addc_u32 s24, s24, 0
	s_add_u32 s24, s26, s24
	s_mul_i32 s30, s13, 0xe38e38e3
	s_addc_u32 s25, 0, 0
	s_mul_hi_u32 s29, s13, 0xe38e38e3
	s_add_u32 s24, s30, s24
	s_addc_u32 s25, s29, s25
	s_mul_i32 s35, s15, 0x8e38e38f
	s_mul_hi_u32 s36, s14, 0x8e38e38f
	s_lshr_b64 s[24:25], s[24:25], 3
	s_mul_hi_u32 s34, s15, 0x8e38e38f
	s_mul_i32 s26, s24, 9
	s_add_u32 s24, s35, s36
	s_mul_i32 s33, s14, 0xe38e38e3
	s_addc_u32 s25, s34, 0
	s_mul_hi_u32 s31, s14, 0xe38e38e3
	s_add_u32 s24, s33, s24
	s_addc_u32 s24, s31, 0
	s_add_u32 s24, s25, s24
	s_mul_i32 s38, s15, 0xe38e38e3
	s_addc_u32 s25, 0, 0
	s_mul_hi_u32 s37, s15, 0xe38e38e3
	s_add_u32 s24, s38, s24
	s_addc_u32 s25, s37, s25
	s_mul_i32 s42, s17, 0x8e38e38f
	s_mul_hi_u32 s43, s16, 0x8e38e38f
	s_lshr_b64 s[24:25], s[24:25], 3
	s_mul_hi_u32 s41, s17, 0x8e38e38f
	s_mul_i32 s27, s24, 9
	;; [unrolled: 17-line block ×6, first 2 shown]
	s_add_u32 s24, s76, s77
	s_mul_i32 s68, s6, 0xe38e38e3
	s_addc_u32 s25, s73, 0
	s_mul_hi_u32 s67, s6, 0xe38e38e3
	s_add_u32 s24, s68, s24
	s_addc_u32 s24, s67, 0
	s_add_u32 s24, s25, s24
	s_mul_i32 s71, s7, 0xe38e38e3
	s_addc_u32 s25, 0, 0
	s_mul_hi_u32 s78, s7, 0xe38e38e3
	s_add_u32 s24, s71, s24
	s_addc_u32 s25, s78, s25
	s_lshr_b64 s[24:25], s[24:25], 3
	s_sub_i32 s33, s6, s69
	s_mul_i32 s24, s24, -9
	s_add_i32 s33, s33, 1
	s_add_i32 s24, s6, s24
	s_mul_i32 s72, s72, 9
	s_mul_i32 s70, s70, 9
	s_add_u32 s4, s4, 1
	s_waitcnt vmcnt(0)
	s_set_gpr_idx_on s24, gpr_idx(DST)
	v_mov_b32_e32 v0, v11
	s_set_gpr_idx_off
	s_addc_u32 s5, s5, 0
	s_sub_i32 s24, s6, s31
	s_sub_i32 s25, s6, s30
	;; [unrolled: 1-line block ×8, first 2 shown]
	s_add_i32 s24, s24, 2
	s_add_i32 s25, s25, 3
	;; [unrolled: 1-line block ×8, first 2 shown]
	s_add_u32 s6, s6, 1
	s_addc_u32 s7, s7, 0
	s_add_u32 s8, s8, 1
	s_addc_u32 s9, s9, 0
	s_add_u32 s10, s10, 1
	s_set_gpr_idx_on s33, gpr_idx(SRC0)
	v_mov_b32_e32 v11, v0
	s_set_gpr_idx_off
	s_addc_u32 s11, s11, 0
	v_fma_f32 v11, v10, v11, 0
	s_set_gpr_idx_on s24, gpr_idx(SRC0)
	v_mov_b32_e32 v24, v0
	s_set_gpr_idx_off
	s_add_u32 s12, s12, 1
	s_set_gpr_idx_on s25, gpr_idx(SRC0)
	v_mov_b32_e32 v25, v0
	s_set_gpr_idx_off
	s_addc_u32 s13, s13, 0
	v_pk_mul_f32 v[24:25], v[16:17], v[24:25]
	s_set_gpr_idx_on s29, gpr_idx(SRC0)
	v_mov_b32_e32 v26, v0
	s_set_gpr_idx_off
	s_add_u32 s14, s14, 1
	v_add_f32_e32 v11, v11, v24
	s_set_gpr_idx_on s28, gpr_idx(SRC0)
	v_mov_b32_e32 v27, v0
	s_set_gpr_idx_off
	s_addc_u32 s15, s15, 0
	v_add_f32_e32 v11, v11, v25
	v_pk_mul_f32 v[24:25], v[12:13], v[26:27]
	s_set_gpr_idx_on s27, gpr_idx(SRC0)
	v_mov_b32_e32 v26, v0
	s_set_gpr_idx_off
	s_add_u32 s16, s16, 1
	v_add_f32_e32 v11, v11, v24
	s_set_gpr_idx_on s26, gpr_idx(SRC0)
	v_mov_b32_e32 v27, v0
	s_set_gpr_idx_off
	s_addc_u32 s17, s17, 0
	v_add_f32_e32 v11, v11, v25
	;; [unrolled: 11-line block ×3, first 2 shown]
	v_pk_mul_f32 v[24:25], v[14:15], v[26:27]
	s_add_u32 s20, s20, 1
	v_add_f32_e32 v11, v11, v24
	s_addc_u32 s21, s21, 0
	v_add_f32_e32 v11, v11, v25
	s_add_u32 s22, s22, 1
	v_add_f32_e32 v11, v9, v11
	s_addc_u32 s23, s23, 0
	v_lshl_add_u64 v[20:21], v[20:21], 0, 4
	global_store_dword v[22:23], v11, off
	s_cmp_eq_u64 s[0:1], s[6:7]
	v_lshl_add_u64 v[22:23], v[22:23], 0, s[2:3]
	s_cbranch_scc0 .LBB16_5
.LBB16_6:
	s_endpgm
	.section	.rodata,"a",@progbits
	.p2align	6, 0x0
	.amdhsa_kernel _ZL12ssm_conv_f32ILb0ELm128ELm9EEvPKfS1_S1_iiiiPfiiil
		.amdhsa_group_segment_fixed_size 0
		.amdhsa_private_segment_fixed_size 0
		.amdhsa_kernarg_size 72
		.amdhsa_user_sgpr_count 2
		.amdhsa_user_sgpr_dispatch_ptr 0
		.amdhsa_user_sgpr_queue_ptr 0
		.amdhsa_user_sgpr_kernarg_segment_ptr 1
		.amdhsa_user_sgpr_dispatch_id 0
		.amdhsa_user_sgpr_kernarg_preload_length 0
		.amdhsa_user_sgpr_kernarg_preload_offset 0
		.amdhsa_user_sgpr_private_segment_size 0
		.amdhsa_uses_dynamic_stack 0
		.amdhsa_enable_private_segment 0
		.amdhsa_system_sgpr_workgroup_id_x 1
		.amdhsa_system_sgpr_workgroup_id_y 1
		.amdhsa_system_sgpr_workgroup_id_z 0
		.amdhsa_system_sgpr_workgroup_info 0
		.amdhsa_system_vgpr_workitem_id 0
		.amdhsa_next_free_vgpr 32
		.amdhsa_next_free_sgpr 81
		.amdhsa_accum_offset 32
		.amdhsa_reserve_vcc 1
		.amdhsa_float_round_mode_32 0
		.amdhsa_float_round_mode_16_64 0
		.amdhsa_float_denorm_mode_32 3
		.amdhsa_float_denorm_mode_16_64 3
		.amdhsa_dx10_clamp 1
		.amdhsa_ieee_mode 1
		.amdhsa_fp16_overflow 0
		.amdhsa_tg_split 0
		.amdhsa_exception_fp_ieee_invalid_op 0
		.amdhsa_exception_fp_denorm_src 0
		.amdhsa_exception_fp_ieee_div_zero 0
		.amdhsa_exception_fp_ieee_overflow 0
		.amdhsa_exception_fp_ieee_underflow 0
		.amdhsa_exception_fp_ieee_inexact 0
		.amdhsa_exception_int_div_zero 0
	.end_amdhsa_kernel
	.section	.text._ZL12ssm_conv_f32ILb0ELm128ELm9EEvPKfS1_S1_iiiiPfiiil,"axG",@progbits,_ZL12ssm_conv_f32ILb0ELm128ELm9EEvPKfS1_S1_iiiiPfiiil,comdat
.Lfunc_end16:
	.size	_ZL12ssm_conv_f32ILb0ELm128ELm9EEvPKfS1_S1_iiiiPfiiil, .Lfunc_end16-_ZL12ssm_conv_f32ILb0ELm128ELm9EEvPKfS1_S1_iiiiPfiiil
                                        ; -- End function
	.set _ZL12ssm_conv_f32ILb0ELm128ELm9EEvPKfS1_S1_iiiiPfiiil.num_vgpr, 32
	.set _ZL12ssm_conv_f32ILb0ELm128ELm9EEvPKfS1_S1_iiiiPfiiil.num_agpr, 0
	.set _ZL12ssm_conv_f32ILb0ELm128ELm9EEvPKfS1_S1_iiiiPfiiil.numbered_sgpr, 81
	.set _ZL12ssm_conv_f32ILb0ELm128ELm9EEvPKfS1_S1_iiiiPfiiil.num_named_barrier, 0
	.set _ZL12ssm_conv_f32ILb0ELm128ELm9EEvPKfS1_S1_iiiiPfiiil.private_seg_size, 0
	.set _ZL12ssm_conv_f32ILb0ELm128ELm9EEvPKfS1_S1_iiiiPfiiil.uses_vcc, 1
	.set _ZL12ssm_conv_f32ILb0ELm128ELm9EEvPKfS1_S1_iiiiPfiiil.uses_flat_scratch, 0
	.set _ZL12ssm_conv_f32ILb0ELm128ELm9EEvPKfS1_S1_iiiiPfiiil.has_dyn_sized_stack, 0
	.set _ZL12ssm_conv_f32ILb0ELm128ELm9EEvPKfS1_S1_iiiiPfiiil.has_recursion, 0
	.set _ZL12ssm_conv_f32ILb0ELm128ELm9EEvPKfS1_S1_iiiiPfiiil.has_indirect_call, 0
	.section	.AMDGPU.csdata,"",@progbits
; Kernel info:
; codeLenInByte = 2060
; TotalNumSgprs: 87
; NumVgprs: 32
; NumAgprs: 0
; TotalNumVgprs: 32
; ScratchSize: 0
; MemoryBound: 0
; FloatMode: 240
; IeeeMode: 1
; LDSByteSize: 0 bytes/workgroup (compile time only)
; SGPRBlocks: 10
; VGPRBlocks: 3
; NumSGPRsForWavesPerEU: 87
; NumVGPRsForWavesPerEU: 32
; AccumOffset: 32
; Occupancy: 8
; WaveLimiterHint : 0
; COMPUTE_PGM_RSRC2:SCRATCH_EN: 0
; COMPUTE_PGM_RSRC2:USER_SGPR: 2
; COMPUTE_PGM_RSRC2:TRAP_HANDLER: 0
; COMPUTE_PGM_RSRC2:TGID_X_EN: 1
; COMPUTE_PGM_RSRC2:TGID_Y_EN: 1
; COMPUTE_PGM_RSRC2:TGID_Z_EN: 0
; COMPUTE_PGM_RSRC2:TIDIG_COMP_CNT: 0
; COMPUTE_PGM_RSRC3_GFX90A:ACCUM_OFFSET: 7
; COMPUTE_PGM_RSRC3_GFX90A:TG_SPLIT: 0
	.section	.text._ZL23ssm_conv_long_token_f32ILb0ELm128ELm9ELl32EEvPKfS1_S1_iiiiPfiiil,"axG",@progbits,_ZL23ssm_conv_long_token_f32ILb0ELm128ELm9ELl32EEvPKfS1_S1_iiiiPfiiil,comdat
	.globl	_ZL23ssm_conv_long_token_f32ILb0ELm128ELm9ELl32EEvPKfS1_S1_iiiiPfiiil ; -- Begin function _ZL23ssm_conv_long_token_f32ILb0ELm128ELm9ELl32EEvPKfS1_S1_iiiiPfiiil
	.p2align	8
	.type	_ZL23ssm_conv_long_token_f32ILb0ELm128ELm9ELl32EEvPKfS1_S1_iiiiPfiiil,@function
_ZL23ssm_conv_long_token_f32ILb0ELm128ELm9ELl32EEvPKfS1_S1_iiiiPfiiil: ; @_ZL23ssm_conv_long_token_f32ILb0ELm128ELm9ELl32EEvPKfS1_S1_iiiiPfiiil
; %bb.0:
	s_load_dwordx4 s[8:11], s[0:1], 0x18
	s_load_dwordx2 s[12:13], s[0:1], 0x0
	s_mov_b32 s6, s3
	v_mul_u32_u24_e32 v1, 0x667, v0
	v_lshrrev_b32_e32 v1, 16, v1
	s_waitcnt lgkmcnt(0)
	s_mul_i32 s3, s10, s2
	s_ashr_i32 s5, s3, 31
	s_add_u32 s3, s12, s3
	s_addc_u32 s5, s13, s5
	s_ashr_i32 s7, s6, 31
	s_lshl_b64 s[12:13], s[6:7], 7
	s_ashr_i32 s10, s9, 31
	s_mul_i32 s10, s12, s10
	s_mul_hi_u32 s14, s12, s9
	s_lshr_b64 s[6:7], s[6:7], 25
	s_add_i32 s10, s14, s10
	s_mul_i32 s6, s6, s9
	s_add_i32 s10, s10, s6
	s_mul_i32 s6, s12, s9
	s_add_u32 s3, s3, s6
	s_addc_u32 s6, s5, s10
	s_ashr_i32 s5, s4, 31
	s_lshl_b64 s[14:15], s[4:5], 5
	s_ashr_i32 s7, s8, 31
	s_mul_i32 s7, s14, s7
	s_mul_hi_u32 s10, s14, s8
	s_lshr_b64 s[4:5], s[4:5], 27
	s_add_i32 s7, s10, s7
	s_mul_i32 s4, s4, s8
	s_add_i32 s7, s7, s4
	s_mul_i32 s4, s14, s8
	s_add_u32 s16, s3, s4
	v_mul_lo_u16_e32 v2, 40, v1
	s_addc_u32 s17, s6, s7
	s_ashr_i32 s3, s9, 2
	v_sub_u16_e32 v2, v0, v2
	v_mad_u64_u32 v[4:5], s[4:5], s3, v1, v[2:3]
	v_ashrrev_i32_e32 v5, 31, v4
	v_or_b32_e32 v3, 0x80, v2
	v_lshl_add_u64 v[6:7], v[4:5], 2, s[16:17]
	v_mul_lo_u16_e32 v4, 0xcd, v3
	v_lshrrev_b16_e32 v4, 13, v4
	v_add_u32_e32 v5, v1, v4
	v_mul_lo_u16_e32 v4, 40, v4
	v_sub_u16_e32 v3, v3, v4
	v_and_b32_e32 v4, 0xff, v3
	v_mad_u64_u32 v[8:9], s[4:5], v5, s3, v[4:5]
	v_ashrrev_i32_e32 v9, 31, v8
	v_lshl_add_u64 v[8:9], v[8:9], 2, s[16:17]
	global_load_dword v3, v[6:7], off
	global_load_dword v11, v[8:9], off
	v_or_b32_e32 v6, 0x80, v4
	v_mul_lo_u16_e32 v7, 0xcd, v6
	v_lshrrev_b16_e32 v7, 13, v7
	v_add_u32_e32 v15, v5, v7
	v_mul_lo_u16_e32 v7, 40, v7
	v_sub_u16_e32 v6, v6, v7
	v_and_b32_e32 v6, 0xff, v6
	v_mad_u64_u32 v[8:9], s[4:5], v15, s3, v[6:7]
	v_or_b32_e32 v7, 0x80, v6
	v_mul_lo_u16_e32 v10, 0xcd, v7
	v_lshrrev_b16_e32 v10, 13, v10
	v_add_u32_e32 v19, v15, v10
	v_mul_lo_u16_e32 v10, 40, v10
	v_sub_u16_e32 v7, v7, v10
	v_and_b32_e32 v10, 0xff, v7
	v_or_b32_e32 v7, 0x80, v10
	v_mul_lo_u16_e32 v14, 0xcd, v7
	v_lshrrev_b16_e32 v14, 13, v14
	v_add_u32_e32 v20, v19, v14
	v_mul_lo_u16_e32 v14, 40, v14
	v_sub_u16_e32 v7, v7, v14
	v_and_b32_e32 v14, 0xff, v7
	v_ashrrev_i32_e32 v9, 31, v8
	v_mad_u64_u32 v[16:17], s[4:5], v20, s3, v[14:15]
	v_lshl_add_u64 v[8:9], v[8:9], 2, s[16:17]
	v_ashrrev_i32_e32 v17, 31, v16
	v_lshl_add_u64 v[16:17], v[16:17], 2, s[16:17]
	v_mul_u32_u24_e32 v1, 0xa0, v1
	v_lshlrev_b32_e32 v2, 2, v2
	v_add3_u32 v1, 0, v1, v2
	v_lshlrev_b32_e32 v2, 2, v4
	s_movk_i32 s6, 0xa0
	s_movk_i32 s7, 0x80
	s_waitcnt vmcnt(0)
	v_mad_u64_u32 v[12:13], s[4:5], v19, s3, v[10:11]
	v_ashrrev_i32_e32 v13, 31, v12
	v_lshl_add_u64 v[12:13], v[12:13], 2, s[16:17]
	global_load_dword v7, v[8:9], off
	global_load_dword v21, v[12:13], off
	;; [unrolled: 1-line block ×3, first 2 shown]
	v_or_b32_e32 v8, 0x80, v14
	v_mul_lo_u16_e32 v9, 0xcd, v8
	v_lshrrev_b16_e32 v9, 13, v9
	v_add_u32_e32 v17, v20, v9
	v_mul_lo_u16_e32 v9, 40, v9
	v_sub_u16_e32 v8, v8, v9
	v_and_b32_e32 v8, 0xff, v8
	v_mad_u64_u32 v[12:13], s[4:5], v17, s3, v[8:9]
	v_ashrrev_i32_e32 v13, 31, v12
	v_lshl_add_u64 v[12:13], v[12:13], 2, s[16:17]
	global_load_dword v9, v[12:13], off
	v_or_b32_e32 v12, 0x80, v8
	v_mul_lo_u16_e32 v13, 0xcd, v12
	v_lshrrev_b16_e32 v13, 13, v13
	v_add_u32_e32 v23, v17, v13
	v_mul_lo_u16_e32 v13, 40, v13
	v_sub_u16_e32 v12, v12, v13
	v_and_b32_e32 v16, 0xff, v12
	v_mad_u64_u32 v[12:13], s[4:5], v23, s3, v[16:17]
	v_ashrrev_i32_e32 v13, 31, v12
	v_lshl_add_u64 v[12:13], v[12:13], 2, s[16:17]
	global_load_dword v24, v[12:13], off
	;; [unrolled: 11-line block ×3, first 2 shown]
	ds_write_b32 v1, v3
	v_mul_u32_u24_e32 v1, 0xa0, v5
	v_add3_u32 v1, 0, v1, v2
	ds_write_b32 v1, v11
	v_mul_u32_u24_e32 v1, 0xa0, v15
	v_lshlrev_b32_e32 v2, 2, v6
	v_add3_u32 v1, 0, v1, v2
	v_lshlrev_b32_e32 v2, 2, v10
	s_waitcnt vmcnt(5)
	ds_write_b32 v1, v7
	v_mul_u32_u24_e32 v1, 0xa0, v19
	v_add3_u32 v1, 0, v1, v2
	s_waitcnt vmcnt(4)
	ds_write_b32 v1, v21
	v_mul_u32_u24_e32 v1, 0xa0, v20
	v_lshlrev_b32_e32 v2, 2, v14
	v_add3_u32 v1, 0, v1, v2
	s_waitcnt vmcnt(3)
	ds_write_b32 v1, v22
	v_mul_u32_u24_e32 v1, 0xa0, v17
	v_lshlrev_b32_e32 v2, 2, v8
	v_add3_u32 v1, 0, v1, v2
	s_waitcnt vmcnt(2)
	ds_write_b32 v1, v9
	v_or_b32_e32 v1, 0x80, v18
	v_mul_lo_u16_e32 v2, 0xcd, v1
	v_lshrrev_b16_e32 v2, 13, v2
	v_add_u32_e32 v3, v25, v2
	v_mul_lo_u16_e32 v2, 40, v2
	v_sub_u16_e32 v1, v1, v2
	v_and_b32_e32 v2, 0xff, v1
	v_or_b32_e32 v1, 0x80, v2
	v_mul_lo_u16_e32 v6, 0xcd, v1
	v_lshrrev_b16_e32 v6, 13, v6
	v_add_u32_e32 v15, v3, v6
	v_mul_lo_u16_e32 v6, 40, v6
	v_sub_u16_e32 v1, v1, v6
	v_mad_u64_u32 v[4:5], s[4:5], v3, s3, v[2:3]
	v_and_b32_e32 v12, 0xff, v1
	v_ashrrev_i32_e32 v5, 31, v4
	v_lshl_add_u64 v[4:5], v[4:5], 2, s[16:17]
	v_or_b32_e32 v1, 0x80, v12
	v_lshlrev_b32_e32 v2, 2, v2
	s_waitcnt vmcnt(0)
	v_mad_u64_u32 v[6:7], s[4:5], v15, s3, v[12:13]
	v_ashrrev_i32_e32 v7, 31, v6
	v_lshl_add_u64 v[6:7], v[6:7], 2, s[16:17]
	global_load_dword v26, v[4:5], off
	global_load_dword v27, v[6:7], off
	v_mul_lo_u16_e32 v4, 0xcd, v1
	v_lshrrev_b16_e32 v4, 13, v4
	v_add_u32_e32 v28, v15, v4
	v_mul_lo_u16_e32 v4, 40, v4
	v_sub_u16_e32 v1, v1, v4
	v_and_b32_e32 v14, 0xff, v1
	v_mad_u64_u32 v[4:5], s[4:5], v28, s3, v[14:15]
	v_ashrrev_i32_e32 v5, 31, v4
	v_lshl_add_u64 v[4:5], v[4:5], 2, s[16:17]
	global_load_dword v29, v[4:5], off
	v_mul_lo_u32 v1, v23, s6
	v_lshlrev_b32_e32 v4, 2, v16
	v_add3_u32 v1, 0, v1, v4
	ds_write_b32 v1, v24
	v_mul_lo_u32 v1, v25, s6
	v_lshlrev_b32_e32 v4, 2, v18
	v_add3_u32 v1, 0, v1, v4
	ds_write_b32 v1, v13
	v_mul_lo_u32 v1, v3, s6
	v_add3_u32 v13, 0, v1, v2
	v_or_b32_e32 v2, 0x80, v14
	v_mul_lo_u16_e32 v1, 0xcd, v2
	v_lshrrev_b16_e32 v3, 13, v1
	v_add_u32_e32 v1, v28, v3
	v_mul_lo_u16_e32 v3, 40, v3
	v_sub_u16_e32 v2, v2, v3
	v_and_b32_e32 v2, 0xff, v2
	v_mad_u64_u32 v[4:5], s[4:5], v1, s3, v[2:3]
	v_ashrrev_i32_e32 v5, 31, v4
	v_lshl_add_u64 v[16:17], v[4:5], 2, s[16:17]
	v_or_b32_e32 v4, 0x80, v2
	v_mul_lo_u16_e32 v3, 0xcd, v4
	v_lshrrev_b16_e32 v5, 13, v3
	v_add_u32_e32 v3, v1, v5
	v_mul_lo_u16_e32 v5, 40, v5
	v_sub_u16_e32 v4, v4, v5
	v_and_b32_e32 v4, 0xff, v4
	v_mad_u64_u32 v[6:7], s[4:5], v3, s3, v[4:5]
	v_ashrrev_i32_e32 v7, 31, v6
	v_lshl_add_u64 v[18:19], v[6:7], 2, s[16:17]
	v_or_b32_e32 v6, 0x80, v4
	v_mul_lo_u16_e32 v5, 0xcd, v6
	v_lshrrev_b16_e32 v7, 13, v5
	v_add_u32_e32 v5, v3, v7
	v_mul_lo_u16_e32 v7, 40, v7
	v_sub_u16_e32 v6, v6, v7
	v_and_b32_e32 v6, 0xff, v6
	v_mad_u64_u32 v[8:9], s[4:5], v5, s3, v[6:7]
	v_ashrrev_i32_e32 v9, 31, v8
	v_or_b32_e32 v7, 0x80, v6
	v_lshl_add_u64 v[20:21], v[8:9], 2, s[16:17]
	v_mul_lo_u16_e32 v8, 0xcd, v7
	v_lshrrev_b16_e32 v8, 13, v8
	v_add_u32_e32 v9, v5, v8
	v_mul_lo_u16_e32 v8, 40, v8
	v_sub_u16_e32 v7, v7, v8
	v_and_b32_e32 v8, 0xff, v7
	v_mad_u64_u32 v[10:11], s[4:5], v9, s3, v[8:9]
	v_ashrrev_i32_e32 v11, 31, v10
	v_or_b32_e32 v7, 0x80, v8
	v_lshl_add_u64 v[22:23], v[10:11], 2, s[16:17]
	v_mul_lo_u16_e32 v10, 0xcd, v7
	v_lshrrev_b16_e32 v10, 13, v10
	v_add_u32_e32 v11, v9, v10
	v_mul_lo_u16_e32 v10, 40, v10
	v_sub_u16_e32 v7, v7, v10
	v_and_b32_e32 v10, 0xff, v7
	v_mad_u64_u32 v[24:25], s[4:5], v11, s3, v[10:11]
	v_ashrrev_i32_e32 v25, 31, v24
	v_lshl_add_u64 v[24:25], v[24:25], 2, s[16:17]
	global_load_dword v7, v[16:17], off
	global_load_dword v33, v[18:19], off
	global_load_dword v37, v[20:21], off
	global_load_dword v40, v[22:23], off
	global_load_dword v41, v[24:25], off
	v_lshlrev_b32_e32 v12, 2, v12
	s_waitcnt vmcnt(7)
	ds_write_b32 v13, v26
	v_mul_lo_u32 v13, v15, s6
	v_add3_u32 v12, 0, v13, v12
	s_waitcnt vmcnt(6)
	ds_write_b32 v12, v27
	v_mul_lo_u32 v12, v28, s6
	v_lshlrev_b32_e32 v13, 2, v14
	v_add3_u32 v12, 0, v12, v13
	v_lshlrev_b32_e32 v2, 2, v2
	v_mul_lo_u32 v1, v1, s6
	v_add3_u32 v1, 0, v1, v2
	v_lshlrev_b32_e32 v2, 2, v4
	s_waitcnt vmcnt(5)
	ds_write_b32 v12, v29
	v_or_b32_e32 v12, 0x80, v10
	v_mul_lo_u16_e32 v13, 0xcd, v12
	v_lshrrev_b16_e32 v13, 13, v13
	v_add_u32_e32 v42, v11, v13
	v_mul_lo_u16_e32 v13, 40, v13
	v_sub_u16_e32 v12, v12, v13
	v_and_b32_e32 v12, 0xff, v12
	v_mad_u64_u32 v[14:15], s[4:5], v42, s3, v[12:13]
	v_ashrrev_i32_e32 v15, 31, v14
	v_or_b32_e32 v13, 0x80, v12
	v_lshl_add_u64 v[16:17], v[14:15], 2, s[16:17]
	v_mul_lo_u16_e32 v14, 0xcd, v13
	v_lshrrev_b16_e32 v14, 13, v14
	v_add_u32_e32 v15, v42, v14
	v_mul_lo_u16_e32 v14, 40, v14
	v_sub_u16_e32 v13, v13, v14
	v_and_b32_e32 v14, 0xff, v13
	v_mad_u64_u32 v[18:19], s[4:5], v15, s3, v[14:15]
	v_ashrrev_i32_e32 v19, 31, v18
	v_lshl_add_u64 v[18:19], v[18:19], 2, s[16:17]
	global_load_dword v13, v[16:17], off
	global_load_dword v43, v[18:19], off
	v_or_b32_e32 v16, 0x80, v14
	v_mul_lo_u16_e32 v17, 0xcd, v16
	v_lshrrev_b16_e32 v17, 13, v17
	v_add_u32_e32 v44, v15, v17
	v_mul_lo_u16_e32 v17, 40, v17
	v_sub_u16_e32 v16, v16, v17
	v_and_b32_e32 v16, 0xff, v16
	v_mad_u64_u32 v[18:19], s[4:5], v44, s3, v[16:17]
	v_ashrrev_i32_e32 v19, 31, v18
	v_or_b32_e32 v17, 0x80, v16
	v_lshl_add_u64 v[24:25], v[18:19], 2, s[16:17]
	v_mul_lo_u16_e32 v18, 0xcd, v17
	v_lshrrev_b16_e32 v18, 13, v18
	v_add_u32_e32 v19, v44, v18
	v_mul_lo_u16_e32 v18, 40, v18
	v_sub_u16_e32 v17, v17, v18
	v_and_b32_e32 v18, 0xff, v17
	v_mad_u64_u32 v[20:21], s[4:5], v19, s3, v[18:19]
	v_ashrrev_i32_e32 v21, 31, v20
	v_or_b32_e32 v17, 0x80, v18
	v_lshl_add_u64 v[26:27], v[20:21], 2, s[16:17]
	;; [unrolled: 10-line block ×3, first 2 shown]
	v_mul_lo_u16_e32 v22, 0xcd, v17
	v_lshrrev_b16_e32 v22, 13, v22
	v_add_u32_e32 v23, v21, v22
	v_mul_lo_u16_e32 v22, 40, v22
	v_sub_u16_e32 v17, v17, v22
	v_and_b32_e32 v22, 0xff, v17
	v_or_b32_e32 v17, 0x80, v22
	v_mul_lo_u16_e32 v32, 0xcd, v17
	v_lshrrev_b16_e32 v32, 13, v32
	v_add_u32_e32 v45, v23, v32
	v_mul_lo_u16_e32 v32, 40, v32
	v_sub_u16_e32 v17, v17, v32
	v_and_b32_e32 v32, 0xff, v17
	v_or_b32_e32 v17, 0x80, v32
	v_mul_lo_u16_e32 v36, 0xcd, v17
	v_lshrrev_b16_e32 v36, 13, v36
	v_add_u32_e32 v46, v45, v36
	v_mul_lo_u16_e32 v36, 40, v36
	v_sub_u16_e32 v17, v17, v36
	v_and_b32_e32 v36, 0xff, v17
	v_mad_u64_u32 v[30:31], s[4:5], v23, s3, v[22:23]
	s_waitcnt vmcnt(5)
	v_mad_u64_u32 v[34:35], s[4:5], v45, s3, v[32:33]
	s_waitcnt vmcnt(4)
	v_mad_u64_u32 v[38:39], s[4:5], v46, s3, v[36:37]
	v_ashrrev_i32_e32 v31, 31, v30
	v_ashrrev_i32_e32 v35, 31, v34
	;; [unrolled: 1-line block ×3, first 2 shown]
	v_lshl_add_u64 v[30:31], v[30:31], 2, s[16:17]
	v_lshl_add_u64 v[34:35], v[34:35], 2, s[16:17]
	;; [unrolled: 1-line block ×3, first 2 shown]
	global_load_dword v17, v[24:25], off
	global_load_dword v47, v[26:27], off
	;; [unrolled: 1-line block ×6, first 2 shown]
	v_or_b32_e32 v24, 0x80, v36
	v_mul_lo_u16_e32 v25, 0xcd, v24
	v_lshrrev_b16_e32 v25, 13, v25
	v_add_u32_e32 v30, v46, v25
	v_mul_lo_u16_e32 v25, 40, v25
	v_sub_u16_e32 v24, v24, v25
	v_and_b32_e32 v24, 0xff, v24
	v_mad_u64_u32 v[26:27], s[4:5], v30, s3, v[24:25]
	v_ashrrev_i32_e32 v27, 31, v26
	v_lshl_add_u64 v[26:27], v[26:27], 2, s[16:17]
	global_load_dword v25, v[26:27], off
	v_or_b32_e32 v26, 0x80, v24
	v_mul_lo_u16_e32 v27, 0xcd, v26
	v_lshrrev_b16_e32 v27, 13, v27
	v_add_u32_e32 v31, v30, v27
	v_mul_lo_u16_e32 v27, 40, v27
	v_sub_u16_e32 v26, v26, v27
	v_and_b32_e32 v26, 0xff, v26
	v_mad_u64_u32 v[28:29], s[4:5], v31, s3, v[26:27]
	v_ashrrev_i32_e32 v29, 31, v28
	v_lshl_add_u64 v[28:29], v[28:29], 2, s[16:17]
	global_load_dword v27, v[28:29], off
	ds_write_b32 v1, v7
	v_mul_lo_u32 v1, v3, s6
	v_add3_u32 v1, 0, v1, v2
	ds_write_b32 v1, v33
	v_mul_lo_u32 v1, v5, s6
	v_lshlrev_b32_e32 v2, 2, v6
	v_add3_u32 v1, 0, v1, v2
	ds_write_b32 v1, v37
	v_mul_lo_u32 v1, v9, s6
	v_lshlrev_b32_e32 v2, 2, v8
	v_add3_u32 v1, 0, v1, v2
	s_waitcnt vmcnt(11)
	ds_write_b32 v1, v40
	v_mul_lo_u32 v1, v11, s6
	v_lshlrev_b32_e32 v2, 2, v10
	v_add3_u32 v1, 0, v1, v2
	s_waitcnt vmcnt(10)
	ds_write_b32 v1, v41
	v_mul_lo_u32 v1, v42, s6
	v_lshlrev_b32_e32 v2, 2, v12
	v_add3_u32 v1, 0, v1, v2
	s_waitcnt vmcnt(9)
	ds_write_b32 v1, v13
	v_mul_lo_u32 v1, v15, s6
	v_lshlrev_b32_e32 v2, 2, v14
	v_add3_u32 v1, 0, v1, v2
	s_waitcnt vmcnt(8)
	ds_write_b32 v1, v43
	v_mul_lo_u32 v1, v44, s6
	v_lshlrev_b32_e32 v2, 2, v16
	v_add3_u32 v1, 0, v1, v2
	v_lshlrev_b32_e32 v2, 2, v18
	s_waitcnt vmcnt(7)
	ds_write_b32 v1, v17
	v_mul_lo_u32 v1, v19, s6
	v_add3_u32 v1, 0, v1, v2
	s_waitcnt vmcnt(6)
	ds_write_b32 v1, v47
	v_mul_lo_u32 v1, v21, s6
	v_lshlrev_b32_e32 v2, 2, v20
	v_add3_u32 v1, 0, v1, v2
	s_waitcnt vmcnt(5)
	ds_write_b32 v1, v48
	v_mul_lo_u32 v1, v23, s6
	v_lshlrev_b32_e32 v2, 2, v22
	;; [unrolled: 5-line block ×6, first 2 shown]
	v_add3_u32 v1, 0, v1, v2
	v_or_b32_e32 v2, 0x80, v26
	s_waitcnt vmcnt(0)
	ds_write_b32 v1, v27
	v_mul_lo_u16_e32 v1, 0xcd, v2
	v_lshrrev_b16_e32 v3, 13, v1
	v_add_u32_e32 v1, v31, v3
	v_mul_lo_u16_e32 v3, 40, v3
	v_sub_u16_e32 v2, v2, v3
	v_and_b32_e32 v2, 0xff, v2
	v_cmp_gt_u32_e32 vcc, s7, v1
	s_and_saveexec_b64 s[4:5], vcc
	s_cbranch_execz .LBB17_2
; %bb.1:
	v_mad_u64_u32 v[4:5], s[8:9], v1, s3, v[2:3]
	v_ashrrev_i32_e32 v5, 31, v4
	v_lshl_add_u64 v[4:5], v[4:5], 2, s[16:17]
	global_load_dword v3, v[4:5], off
	v_mul_lo_u32 v4, v1, s6
	v_lshlrev_b32_e32 v5, 2, v2
	v_add3_u32 v4, 0, v4, v5
	s_waitcnt vmcnt(0)
	ds_write_b32 v4, v3
.LBB17_2:
	s_or_b64 exec, exec, s[4:5]
	v_or_b32_e32 v2, 0x80, v2
	v_mul_lo_u16_e32 v3, 0xcd, v2
	v_lshrrev_b16_e32 v3, 13, v3
	v_add_u32_e32 v1, v1, v3
	v_mul_lo_u16_e32 v3, 40, v3
	v_sub_u16_e32 v2, v2, v3
	v_and_b32_e32 v2, 0xff, v2
	v_cmp_gt_u32_e32 vcc, s7, v1
	s_and_saveexec_b64 s[4:5], vcc
	s_cbranch_execz .LBB17_4
; %bb.3:
	v_mad_u64_u32 v[4:5], s[6:7], v1, s3, v[2:3]
	v_ashrrev_i32_e32 v5, 31, v4
	v_lshl_add_u64 v[4:5], v[4:5], 2, s[16:17]
	global_load_dword v3, v[4:5], off
	s_movk_i32 s6, 0xa0
	v_mul_lo_u32 v4, v1, s6
	v_lshlrev_b32_e32 v5, 2, v2
	v_add3_u32 v4, 0, v4, v5
	s_waitcnt vmcnt(0)
	ds_write_b32 v4, v3
.LBB17_4:
	s_or_b64 exec, exec, s[4:5]
	v_or_b32_e32 v2, 0x80, v2
	v_mul_lo_u16_e32 v3, 0xcd, v2
	v_lshrrev_b16_e32 v3, 13, v3
	v_add_u32_e32 v1, v1, v3
	v_mul_lo_u16_e32 v3, 40, v3
	s_movk_i32 s6, 0x80
	v_sub_u16_e32 v2, v2, v3
	v_and_b32_e32 v2, 0xff, v2
	v_cmp_gt_u32_e32 vcc, s6, v1
	s_and_saveexec_b64 s[4:5], vcc
	s_cbranch_execz .LBB17_6
; %bb.5:
	v_mad_u64_u32 v[4:5], s[8:9], v1, s3, v[2:3]
	v_ashrrev_i32_e32 v5, 31, v4
	v_lshl_add_u64 v[4:5], v[4:5], 2, s[16:17]
	global_load_dword v3, v[4:5], off
	s_movk_i32 s7, 0xa0
	v_mul_lo_u32 v4, v1, s7
	v_lshlrev_b32_e32 v5, 2, v2
	v_add3_u32 v4, 0, v4, v5
	s_waitcnt vmcnt(0)
	ds_write_b32 v4, v3
.LBB17_6:
	s_or_b64 exec, exec, s[4:5]
	v_or_b32_e32 v2, 0x80, v2
	v_mul_lo_u16_e32 v3, 0xcd, v2
	v_lshrrev_b16_e32 v3, 13, v3
	v_add_u32_e32 v1, v1, v3
	v_mul_lo_u16_e32 v3, 40, v3
	v_sub_u16_e32 v2, v2, v3
	v_and_b32_e32 v2, 0xff, v2
	v_cmp_gt_u32_e32 vcc, s6, v1
	s_and_saveexec_b64 s[4:5], vcc
	s_cbranch_execz .LBB17_8
; %bb.7:
	v_mad_u64_u32 v[4:5], s[6:7], v1, s3, v[2:3]
	v_ashrrev_i32_e32 v5, 31, v4
	v_lshl_add_u64 v[4:5], v[4:5], 2, s[16:17]
	global_load_dword v3, v[4:5], off
	s_movk_i32 s6, 0xa0
	v_mul_lo_u32 v4, v1, s6
	v_lshlrev_b32_e32 v5, 2, v2
	v_add3_u32 v4, 0, v4, v5
	s_waitcnt vmcnt(0)
	ds_write_b32 v4, v3
.LBB17_8:
	s_or_b64 exec, exec, s[4:5]
	v_or_b32_e32 v2, 0x80, v2
	v_mul_lo_u16_e32 v3, 0xcd, v2
	v_lshrrev_b16_e32 v3, 13, v3
	v_add_u32_e32 v1, v1, v3
	v_mul_lo_u16_e32 v3, 40, v3
	s_movk_i32 s6, 0x80
	v_sub_u16_e32 v2, v2, v3
	v_and_b32_e32 v2, 0xff, v2
	v_cmp_gt_u32_e32 vcc, s6, v1
	s_and_saveexec_b64 s[4:5], vcc
	s_cbranch_execz .LBB17_10
; %bb.9:
	v_mad_u64_u32 v[4:5], s[8:9], v1, s3, v[2:3]
	v_ashrrev_i32_e32 v5, 31, v4
	v_lshl_add_u64 v[4:5], v[4:5], 2, s[16:17]
	global_load_dword v3, v[4:5], off
	s_movk_i32 s7, 0xa0
	v_mul_lo_u32 v4, v1, s7
	v_lshlrev_b32_e32 v5, 2, v2
	v_add3_u32 v4, 0, v4, v5
	s_waitcnt vmcnt(0)
	ds_write_b32 v4, v3
.LBB17_10:
	;; [unrolled: 47-line block ×3, first 2 shown]
	s_or_b64 exec, exec, s[4:5]
	s_load_dwordx4 s[4:7], s[0:1], 0x8
	s_load_dwordx2 s[8:9], s[0:1], 0x28
	s_movk_i32 s10, 0x380
	v_cmp_gt_u32_e32 vcc, s10, v0
	s_and_saveexec_b64 s[18:19], vcc
	s_cbranch_execz .LBB17_35
; %bb.15:
	v_or_b32_e32 v2, 0x80, v2
	v_mul_lo_u16_e32 v3, 0xcd, v2
	v_lshrrev_b16_e32 v3, 13, v3
	v_add_u32_e32 v1, v1, v3
	v_mul_lo_u16_e32 v3, 40, v3
	s_movk_i32 s10, 0x80
	v_sub_u16_e32 v2, v2, v3
	v_and_b32_e32 v2, 0xff, v2
	v_cmp_gt_u32_e32 vcc, s10, v1
	s_and_saveexec_b64 s[20:21], vcc
	s_cbranch_execz .LBB17_17
; %bb.16:
	v_mad_u64_u32 v[4:5], s[22:23], v1, s3, v[2:3]
	v_ashrrev_i32_e32 v5, 31, v4
	v_lshl_add_u64 v[4:5], v[4:5], 2, s[16:17]
	global_load_dword v3, v[4:5], off
	s_movk_i32 s10, 0xa0
	v_mul_lo_u32 v4, v1, s10
	v_lshlrev_b32_e32 v5, 2, v2
	v_add3_u32 v4, 0, v4, v5
	s_waitcnt vmcnt(0)
	ds_write_b32 v4, v3
.LBB17_17:
	s_or_b64 exec, exec, s[20:21]
	s_movk_i32 s10, 0x300
	v_cmp_gt_u32_e32 vcc, s10, v0
	s_and_b64 exec, exec, vcc
	s_cbranch_execz .LBB17_35
; %bb.18:
	v_or_b32_e32 v2, 0x80, v2
	v_mul_lo_u16_e32 v3, 0xcd, v2
	v_lshrrev_b16_e32 v3, 13, v3
	v_add_u32_e32 v1, v1, v3
	v_mul_lo_u16_e32 v3, 40, v3
	s_movk_i32 s10, 0x80
	v_sub_u16_e32 v2, v2, v3
	v_and_b32_e32 v2, 0xff, v2
	v_cmp_gt_u32_e32 vcc, s10, v1
	s_and_saveexec_b64 s[20:21], vcc
	s_cbranch_execz .LBB17_20
; %bb.19:
	v_mad_u64_u32 v[4:5], s[22:23], v1, s3, v[2:3]
	v_ashrrev_i32_e32 v5, 31, v4
	v_lshl_add_u64 v[4:5], v[4:5], 2, s[16:17]
	global_load_dword v3, v[4:5], off
	s_movk_i32 s10, 0xa0
	v_mul_lo_u32 v4, v1, s10
	v_lshlrev_b32_e32 v5, 2, v2
	v_add3_u32 v4, 0, v4, v5
	s_waitcnt vmcnt(0)
	ds_write_b32 v4, v3
.LBB17_20:
	s_or_b64 exec, exec, s[20:21]
	s_movk_i32 s10, 0x280
	v_cmp_gt_u32_e32 vcc, s10, v0
	s_and_b64 exec, exec, vcc
	;; [unrolled: 29-line block ×5, first 2 shown]
	s_cbranch_execz .LBB17_35
; %bb.30:
	v_or_b32_e32 v2, 0x80, v2
	v_mul_lo_u16_e32 v3, 0xcd, v2
	v_lshrrev_b16_e32 v3, 13, v3
	v_add_u32_e32 v1, v1, v3
	v_mul_lo_u16_e32 v3, 40, v3
	s_movk_i32 s10, 0x80
	v_sub_u16_e32 v2, v2, v3
	v_and_b32_e32 v2, 0xff, v2
	v_cmp_gt_u32_e32 vcc, s10, v1
	s_and_saveexec_b64 s[20:21], vcc
	s_cbranch_execz .LBB17_32
; %bb.31:
	v_mad_u64_u32 v[4:5], s[22:23], v1, s3, v[2:3]
	v_ashrrev_i32_e32 v5, 31, v4
	v_lshl_add_u64 v[4:5], v[4:5], 2, s[16:17]
	global_load_dword v3, v[4:5], off
	s_movk_i32 s22, 0xa0
	v_mul_lo_u32 v4, v1, s22
	v_lshlrev_b32_e32 v5, 2, v2
	v_add3_u32 v4, 0, v4, v5
	s_waitcnt vmcnt(0)
	ds_write_b32 v4, v3
.LBB17_32:
	s_or_b64 exec, exec, s[20:21]
	v_cmp_gt_u32_e32 vcc, s10, v0
	s_and_b64 exec, exec, vcc
	s_cbranch_execz .LBB17_35
; %bb.33:
	v_or_b32_e32 v2, 0x80, v2
	v_mul_lo_u16_e32 v3, 0xcd, v2
	v_lshrrev_b16_e32 v3, 13, v3
	v_add_u32_e32 v1, v1, v3
	v_cmp_gt_u32_e32 vcc, s10, v1
	s_and_b64 exec, exec, vcc
	s_cbranch_execz .LBB17_35
; %bb.34:
	v_mul_lo_u16_e32 v3, 40, v3
	v_sub_u16_e32 v2, v2, v3
	v_and_b32_e32 v2, 0xff, v2
	v_mad_u64_u32 v[4:5], s[20:21], v1, s3, v[2:3]
	v_ashrrev_i32_e32 v5, 31, v4
	v_lshl_add_u64 v[4:5], v[4:5], 2, s[16:17]
	global_load_dword v3, v[4:5], off
	s_movk_i32 s3, 0xa0
	v_mul_lo_u32 v1, v1, s3
	v_lshlrev_b32_e32 v2, 2, v2
	v_add3_u32 v1, 0, v1, v2
	s_waitcnt vmcnt(0)
	ds_write_b32 v1, v3
.LBB17_35:
	s_or_b64 exec, exec, s[18:19]
	s_ashr_i32 s3, s11, 31
	s_mul_hi_u32 s10, s12, s11
	s_mul_i32 s3, s12, s3
	s_add_i32 s3, s10, s3
	s_mul_i32 s10, s13, s11
	s_add_i32 s3, s3, s10
	s_mul_i32 s10, s12, s11
	s_waitcnt lgkmcnt(0)
	s_add_u32 s4, s4, s10
	s_addc_u32 s5, s5, s3
	s_ashr_i32 s3, s11, 2
	v_mul_lo_u32 v2, s3, v0
	v_ashrrev_i32_e32 v3, 31, v2
	v_lshl_add_u64 v[12:13], v[2:3], 2, s[4:5]
	s_barrier
	global_load_dword v11, v[12:13], off offset:32
	global_load_dwordx4 v[6:9], v[12:13], off offset:16
	global_load_dwordx4 v[2:5], v[12:13], off
	s_cmp_eq_u64 s[6:7], 0
	v_lshlrev_b32_e32 v20, 2, v0
	s_cbranch_scc1 .LBB17_37
; %bb.36:
	s_lshl_b64 s[4:5], s[12:13], 2
	s_add_u32 s4, s6, s4
	s_addc_u32 s5, s7, s5
	global_load_dword v12, v20, s[4:5]
	s_branch .LBB17_38
.LBB17_37:
	v_mov_b32_e32 v12, 0
.LBB17_38:
	s_load_dwordx2 s[4:5], s[0:1], 0x40
	s_waitcnt lgkmcnt(0)
	s_sub_u32 s6, s4, s14
	s_subb_u32 s7, s5, s15
	v_cmp_lt_i64_e64 s[4:5], s[6:7], 1
	s_and_b64 vcc, exec, s[4:5]
	s_cbranch_vccnz .LBB17_46
; %bb.39:
	s_load_dwordx4 s[16:19], s[0:1], 0x30
	v_cmp_lt_u64_e64 s[4:5], s[6:7], 32
	s_waitcnt vmcnt(0)
	v_mov_b32_e32 v14, v3
	v_mov_b32_e32 v15, v4
	;; [unrolled: 1-line block ×3, first 2 shown]
	s_waitcnt lgkmcnt(0)
	s_ashr_i32 s0, s17, 31
	s_mul_hi_u32 s1, s14, s17
	s_mul_i32 s0, s14, s0
	s_add_i32 s0, s1, s0
	s_mul_i32 s1, s15, s17
	s_add_i32 s15, s0, s1
	s_ashr_i32 s0, s16, 31
	s_mul_hi_u32 s1, s12, s16
	s_mul_i32 s0, s12, s0
	s_mul_i32 s10, s18, s2
	s_add_i32 s0, s1, s0
	s_mul_i32 s1, s13, s16
	s_ashr_i32 s11, s10, 31
	s_add_i32 s13, s0, s1
	s_ashr_i32 s0, s17, 2
	s_and_b64 s[4:5], s[4:5], exec
	s_cselect_b32 s5, s7, 0
	s_cselect_b32 s4, s6, 32
	s_cmp_eq_u64 s[6:7], 1
	s_cselect_b64 s[6:7], -1, 0
	s_cmp_lg_u32 s0, 1
	s_mul_i32 s14, s14, s17
	s_mul_i32 s12, s12, s16
	s_cselect_b64 s[16:17], -1, 0
	s_or_b64 s[6:7], s[6:7], s[16:17]
	v_mov_b32_e32 v17, v6
	v_mov_b32_e32 v18, v7
	;; [unrolled: 1-line block ×4, first 2 shown]
	v_mul_u32_u24_e32 v36, 0xa0, v0
	v_mov_b32_e32 v21, 0
	s_mov_b32 s3, 0
	s_and_b64 vcc, exec, s[6:7]
	s_cbranch_vccnz .LBB17_43
; %bb.40:
	s_add_u32 s1, s8, s10
	s_addc_u32 s2, s9, s11
	v_add_u32_e32 v37, 0, v36
	s_add_u32 s1, s1, s14
	ds_read2_b32 v[34:35], v37 offset1:1
	s_addc_u32 s2, s2, s15
	s_add_u32 s6, s1, s12
	s_addc_u32 s7, s2, s13
	s_and_b32 s2, s4, 62
	v_lshl_add_u64 v[0:1], s[6:7], 0, v[20:21]
	v_mov_b32_e32 v22, v2
	v_mov_b32_e32 v23, v2
	v_mov_b32_e32 v24, v14
	v_mov_b32_e32 v25, v3
	v_mov_b32_e32 v26, v4
	v_mov_b32_e32 v27, v15
	v_mov_b32_e32 v4, v16
	v_mov_b32_e32 v28, v6
	v_mov_b32_e32 v29, v17
	v_mov_b32_e32 v6, v18
	v_mov_b32_e32 v30, v8
	v_mov_b32_e32 v31, v19
	v_mov_b32_e32 v8, v10
	v_mov_b32_e32 v32, v11
	v_mov_b32_e32 v33, v11
	v_mov_b32_e32 v13, v12
	s_mov_b64 s[6:7], s[2:3]
.LBB17_41:                              ; =>This Inner Loop Header: Depth=1
	s_waitcnt lgkmcnt(0)
	v_pk_fma_f32 v[38:39], v[22:23], v[34:35], 0 op_sel_hi:[1,1,0]
	ds_read2_b32 v[40:41], v37 offset0:1 offset1:2
	ds_read2_b32 v[34:35], v37 offset0:2 offset1:3
	ds_read2_b32 v[42:43], v37 offset0:3 offset1:4
	ds_read2_b32 v[44:45], v37 offset0:4 offset1:5
	ds_read2_b32 v[46:47], v37 offset0:5 offset1:6
	ds_read2_b32 v[48:49], v37 offset0:6 offset1:7
	ds_read2_b32 v[50:51], v37 offset0:7 offset1:8
	ds_read2_b32 v[52:53], v37 offset0:8 offset1:9
	s_waitcnt lgkmcnt(7)
	v_pk_fma_f32 v[38:39], v[24:25], v[40:41], v[38:39]
	s_add_u32 s6, s6, -2
	s_waitcnt lgkmcnt(6)
	v_pk_fma_f32 v[38:39], v[26:27], v[34:35], v[38:39]
	v_add_u32_e32 v3, 8, v37
	s_waitcnt lgkmcnt(5)
	v_pk_fma_f32 v[38:39], v[4:5], v[42:43], v[38:39]
	s_addc_u32 s7, s7, -1
	s_waitcnt lgkmcnt(4)
	v_pk_fma_f32 v[38:39], v[28:29], v[44:45], v[38:39]
	v_mov_b32_e32 v37, v3
	s_waitcnt lgkmcnt(3)
	v_pk_fma_f32 v[38:39], v[6:7], v[46:47], v[38:39]
	s_cmp_lg_u64 s[6:7], 0
	s_waitcnt lgkmcnt(2)
	v_pk_fma_f32 v[38:39], v[30:31], v[48:49], v[38:39]
	s_waitcnt lgkmcnt(1)
	v_pk_fma_f32 v[38:39], v[8:9], v[50:51], v[38:39]
	;; [unrolled: 2-line block ×3, first 2 shown]
	s_nop 0
	v_pk_add_f32 v[38:39], v[12:13], v[38:39]
	global_store_dwordx2 v[0:1], v[38:39], off
	v_lshl_add_u64 v[0:1], v[0:1], 0, 8
	s_cbranch_scc1 .LBB17_41
; %bb.42:
	s_cmp_lg_u64 s[4:5], s[2:3]
	s_cselect_b64 s[6:7], -1, 0
	s_and_b64 vcc, exec, s[6:7]
	s_cbranch_vccnz .LBB17_44
	s_branch .LBB17_46
.LBB17_43:
	s_mov_b64 s[2:3], 0
	s_cbranch_execz .LBB17_46
.LBB17_44:
	s_ashr_i32 s1, s0, 31
	s_sub_u32 s4, s4, s2
	s_subb_u32 s5, s5, s3
	s_add_u32 s3, s12, s14
	s_mul_hi_i32 s7, s2, s0
	s_mul_i32 s6, s2, s0
	s_addc_u32 s12, s13, s15
	s_lshl_b64 s[6:7], s[6:7], 2
	s_add_u32 s3, s3, s6
	s_addc_u32 s7, s12, s7
	s_add_u32 s6, s8, s10
	s_addc_u32 s8, s9, s11
	;; [unrolled: 2-line block ×3, first 2 shown]
	s_lshl_b32 s2, s2, 2
	s_add_i32 s2, s2, 0
	v_add_u32_e32 v3, s2, v36
	ds_read_b32 v0, v3
	v_mov_b32_e32 v21, 0
	v_lshl_add_u64 v[4:5], s[6:7], 0, v[20:21]
	s_lshl_b64 s[0:1], s[0:1], 2
.LBB17_45:                              ; =>This Inner Loop Header: Depth=1
	s_waitcnt lgkmcnt(0)
	v_fma_f32 v13, v2, v0, 0
	ds_read2_b32 v[0:1], v3 offset0:1 offset1:2
	ds_read2_b32 v[6:7], v3 offset0:3 offset1:4
	;; [unrolled: 1-line block ×4, first 2 shown]
	v_add_u32_e32 v22, 4, v3
	v_mov_b32_e32 v3, v22
	s_waitcnt lgkmcnt(3)
	v_pk_mul_f32 v[22:23], v[14:15], v[0:1]
	s_waitcnt lgkmcnt(2)
	v_pk_mul_f32 v[6:7], v[16:17], v[6:7]
	v_add_f32_e32 v1, v13, v22
	v_add_f32_e32 v1, v1, v23
	v_add_f32_e32 v1, v1, v6
	s_waitcnt lgkmcnt(1)
	v_pk_mul_f32 v[8:9], v[18:19], v[8:9]
	v_add_f32_e32 v1, v1, v7
	v_add_f32_e32 v1, v1, v8
	s_waitcnt lgkmcnt(0)
	v_pk_mul_f32 v[20:21], v[10:11], v[20:21]
	v_add_f32_e32 v1, v1, v9
	v_add_f32_e32 v1, v1, v20
	s_add_u32 s4, s4, -1
	v_add_f32_e32 v1, v1, v21
	s_addc_u32 s5, s5, -1
	v_add_f32_e32 v1, v12, v1
	s_cmp_lg_u64 s[4:5], 0
	global_store_dword v[4:5], v1, off
	v_lshl_add_u64 v[4:5], v[4:5], 0, s[0:1]
	s_cbranch_scc1 .LBB17_45
.LBB17_46:
	s_endpgm
	.section	.rodata,"a",@progbits
	.p2align	6, 0x0
	.amdhsa_kernel _ZL23ssm_conv_long_token_f32ILb0ELm128ELm9ELl32EEvPKfS1_S1_iiiiPfiiil
		.amdhsa_group_segment_fixed_size 0
		.amdhsa_private_segment_fixed_size 0
		.amdhsa_kernarg_size 72
		.amdhsa_user_sgpr_count 2
		.amdhsa_user_sgpr_dispatch_ptr 0
		.amdhsa_user_sgpr_queue_ptr 0
		.amdhsa_user_sgpr_kernarg_segment_ptr 1
		.amdhsa_user_sgpr_dispatch_id 0
		.amdhsa_user_sgpr_kernarg_preload_length 0
		.amdhsa_user_sgpr_kernarg_preload_offset 0
		.amdhsa_user_sgpr_private_segment_size 0
		.amdhsa_uses_dynamic_stack 0
		.amdhsa_enable_private_segment 0
		.amdhsa_system_sgpr_workgroup_id_x 1
		.amdhsa_system_sgpr_workgroup_id_y 1
		.amdhsa_system_sgpr_workgroup_id_z 1
		.amdhsa_system_sgpr_workgroup_info 0
		.amdhsa_system_vgpr_workitem_id 0
		.amdhsa_next_free_vgpr 54
		.amdhsa_next_free_sgpr 24
		.amdhsa_accum_offset 56
		.amdhsa_reserve_vcc 1
		.amdhsa_float_round_mode_32 0
		.amdhsa_float_round_mode_16_64 0
		.amdhsa_float_denorm_mode_32 3
		.amdhsa_float_denorm_mode_16_64 3
		.amdhsa_dx10_clamp 1
		.amdhsa_ieee_mode 1
		.amdhsa_fp16_overflow 0
		.amdhsa_tg_split 0
		.amdhsa_exception_fp_ieee_invalid_op 0
		.amdhsa_exception_fp_denorm_src 0
		.amdhsa_exception_fp_ieee_div_zero 0
		.amdhsa_exception_fp_ieee_overflow 0
		.amdhsa_exception_fp_ieee_underflow 0
		.amdhsa_exception_fp_ieee_inexact 0
		.amdhsa_exception_int_div_zero 0
	.end_amdhsa_kernel
	.section	.text._ZL23ssm_conv_long_token_f32ILb0ELm128ELm9ELl32EEvPKfS1_S1_iiiiPfiiil,"axG",@progbits,_ZL23ssm_conv_long_token_f32ILb0ELm128ELm9ELl32EEvPKfS1_S1_iiiiPfiiil,comdat
.Lfunc_end17:
	.size	_ZL23ssm_conv_long_token_f32ILb0ELm128ELm9ELl32EEvPKfS1_S1_iiiiPfiiil, .Lfunc_end17-_ZL23ssm_conv_long_token_f32ILb0ELm128ELm9ELl32EEvPKfS1_S1_iiiiPfiiil
                                        ; -- End function
	.set _ZL23ssm_conv_long_token_f32ILb0ELm128ELm9ELl32EEvPKfS1_S1_iiiiPfiiil.num_vgpr, 54
	.set _ZL23ssm_conv_long_token_f32ILb0ELm128ELm9ELl32EEvPKfS1_S1_iiiiPfiiil.num_agpr, 0
	.set _ZL23ssm_conv_long_token_f32ILb0ELm128ELm9ELl32EEvPKfS1_S1_iiiiPfiiil.numbered_sgpr, 24
	.set _ZL23ssm_conv_long_token_f32ILb0ELm128ELm9ELl32EEvPKfS1_S1_iiiiPfiiil.num_named_barrier, 0
	.set _ZL23ssm_conv_long_token_f32ILb0ELm128ELm9ELl32EEvPKfS1_S1_iiiiPfiiil.private_seg_size, 0
	.set _ZL23ssm_conv_long_token_f32ILb0ELm128ELm9ELl32EEvPKfS1_S1_iiiiPfiiil.uses_vcc, 1
	.set _ZL23ssm_conv_long_token_f32ILb0ELm128ELm9ELl32EEvPKfS1_S1_iiiiPfiiil.uses_flat_scratch, 0
	.set _ZL23ssm_conv_long_token_f32ILb0ELm128ELm9ELl32EEvPKfS1_S1_iiiiPfiiil.has_dyn_sized_stack, 0
	.set _ZL23ssm_conv_long_token_f32ILb0ELm128ELm9ELl32EEvPKfS1_S1_iiiiPfiiil.has_recursion, 0
	.set _ZL23ssm_conv_long_token_f32ILb0ELm128ELm9ELl32EEvPKfS1_S1_iiiiPfiiil.has_indirect_call, 0
	.section	.AMDGPU.csdata,"",@progbits
; Kernel info:
; codeLenInByte = 5528
; TotalNumSgprs: 30
; NumVgprs: 54
; NumAgprs: 0
; TotalNumVgprs: 54
; ScratchSize: 0
; MemoryBound: 0
; FloatMode: 240
; IeeeMode: 1
; LDSByteSize: 0 bytes/workgroup (compile time only)
; SGPRBlocks: 3
; VGPRBlocks: 6
; NumSGPRsForWavesPerEU: 30
; NumVGPRsForWavesPerEU: 54
; AccumOffset: 56
; Occupancy: 8
; WaveLimiterHint : 0
; COMPUTE_PGM_RSRC2:SCRATCH_EN: 0
; COMPUTE_PGM_RSRC2:USER_SGPR: 2
; COMPUTE_PGM_RSRC2:TRAP_HANDLER: 0
; COMPUTE_PGM_RSRC2:TGID_X_EN: 1
; COMPUTE_PGM_RSRC2:TGID_Y_EN: 1
; COMPUTE_PGM_RSRC2:TGID_Z_EN: 1
; COMPUTE_PGM_RSRC2:TIDIG_COMP_CNT: 0
; COMPUTE_PGM_RSRC3_GFX90A:ACCUM_OFFSET: 13
; COMPUTE_PGM_RSRC3_GFX90A:TG_SPLIT: 0
	.section	.text._ZL12ssm_conv_f32ILb0ELm128ELm15EEvPKfS1_S1_iiiiPfiiil,"axG",@progbits,_ZL12ssm_conv_f32ILb0ELm128ELm15EEvPKfS1_S1_iiiiPfiiil,comdat
	.globl	_ZL12ssm_conv_f32ILb0ELm128ELm15EEvPKfS1_S1_iiiiPfiiil ; -- Begin function _ZL12ssm_conv_f32ILb0ELm128ELm15EEvPKfS1_S1_iiiiPfiiil
	.p2align	8
	.type	_ZL12ssm_conv_f32ILb0ELm128ELm15EEvPKfS1_S1_iiiiPfiiil,@function
_ZL12ssm_conv_f32ILb0ELm128ELm15EEvPKfS1_S1_iiiiPfiiil: ; @_ZL12ssm_conv_f32ILb0ELm128ELm15EEvPKfS1_S1_iiiiPfiiil
; %bb.0:
	s_load_dwordx4 s[12:15], s[0:1], 0x1c
	s_load_dwordx4 s[4:7], s[0:1], 0x0
	s_load_dwordx2 s[10:11], s[0:1], 0x10
	s_mov_b32 s8, s3
	s_ashr_i32 s9, s3, 31
	s_lshl_b64 s[16:17], s[8:9], 7
	s_waitcnt lgkmcnt(0)
	s_ashr_i32 s3, s14, 31
	s_mul_i32 s3, s16, s3
	s_mul_hi_u32 s15, s16, s14
	s_lshr_b64 s[8:9], s[8:9], 25
	s_add_i32 s3, s15, s3
	s_mul_i32 s8, s8, s14
	s_add_i32 s3, s3, s8
	s_mul_i32 s8, s16, s14
	s_add_u32 s8, s6, s8
	s_addc_u32 s9, s7, s3
	s_cmp_eq_u64 s[10:11], 0
	v_lshlrev_b32_e32 v34, 2, v0
	s_cbranch_scc1 .LBB18_2
; %bb.1:
	s_lshl_b64 s[6:7], s[16:17], 2
	s_add_u32 s6, s10, s6
	s_addc_u32 s7, s11, s7
	global_load_dword v36, v34, s[6:7]
	s_load_dwordx2 s[6:7], s[0:1], 0x40
	s_waitcnt lgkmcnt(0)
	v_cmp_lt_i64_e64 s[10:11], s[6:7], 1
	s_and_b64 vcc, exec, s[10:11]
	s_cbranch_vccz .LBB18_3
	s_branch .LBB18_6
.LBB18_2:
	v_mov_b32_e32 v36, 0
	s_load_dwordx2 s[6:7], s[0:1], 0x40
	s_waitcnt lgkmcnt(0)
	v_cmp_lt_i64_e64 s[10:11], s[6:7], 1
	s_and_b64 vcc, exec, s[10:11]
	s_cbranch_vccnz .LBB18_6
.LBB18_3:
	s_ashr_i32 s3, s14, 2
	v_mul_lo_u32 v2, s3, v0
	v_ashrrev_i32_e32 v3, 31, v2
	v_lshl_add_u64 v[2:3], v[2:3], 2, s[8:9]
	global_load_dwordx3 v[38:40], v[2:3], off offset:48
	global_load_dwordx4 v[26:29], v[2:3], off offset:32
	global_load_dwordx4 v[22:25], v[2:3], off offset:16
	global_load_dwordx4 v[16:19], v[2:3], off
	s_load_dwordx2 s[14:15], s[0:1], 0x28
	s_load_dwordx4 s[8:11], s[0:1], 0x30
	s_ashr_i32 s0, s12, 31
	s_mul_hi_u32 s1, s16, s12
	s_mul_i32 s0, s16, s0
	s_mul_i32 s3, s13, s2
	s_add_i32 s0, s1, s0
	s_mul_i32 s1, s17, s12
	s_waitcnt lgkmcnt(0)
	s_mul_i32 s10, s10, s2
	s_ashr_i32 s11, s3, 31
	s_add_i32 s18, s0, s1
	s_ashr_i32 s13, s10, 31
	s_add_u32 s0, s14, s10
	s_addc_u32 s1, s15, s13
	s_ashr_i32 s2, s8, 31
	s_mul_hi_u32 s20, s16, s8
	s_mul_i32 s2, s16, s2
	s_add_i32 s2, s20, s2
	s_mul_i32 s17, s17, s8
	s_add_i32 s17, s2, s17
	s_mul_i32 s8, s16, s8
	s_add_u32 s0, s0, s8
	s_addc_u32 s1, s1, s17
	s_add_u32 s2, s4, s3
	s_mul_i32 s19, s16, s12
	s_addc_u32 s16, s5, s11
	s_add_u32 s20, s2, s19
	s_addc_u32 s21, s16, s18
	s_ashr_i32 s2, s12, 2
	v_mul_lo_u32 v32, s2, v0
	v_ashrrev_i32_e32 v33, 31, v32
	v_lshl_add_u64 v[20:21], v[32:33], 2, s[20:21]
	global_load_dwordx4 v[0:3], v[20:21], off
	global_load_dwordx4 v[4:7], v[20:21], off offset:16
	global_load_dwordx4 v[8:11], v[20:21], off offset:32
	global_load_dwordx3 v[12:14], v[20:21], off offset:48
	v_mov_b32_e32 v35, 0
	s_cmp_eq_u64 s[6:7], 1
	s_waitcnt vmcnt(7)
	v_mov_b32_e32 v30, v39
	v_mov_b32_e32 v31, v40
	s_waitcnt vmcnt(5)
	v_mov_b32_e32 v21, v22
	s_waitcnt vmcnt(4)
	v_mov_b32_e32 v20, v19
	v_mov_b32_e32 v22, v23
	;; [unrolled: 1-line block ×9, first 2 shown]
	s_waitcnt vmcnt(3)
	v_fma_f32 v15, v16, v0, 0
	s_waitcnt vmcnt(2)
	v_pk_mov_b32 v[38:39], v[2:3], v[4:5] op_sel:[1,0]
	v_fmac_f32_e32 v15, v17, v1
	v_pk_mul_f32 v[38:39], v[20:21], v[38:39]
	v_fmac_f32_e32 v15, v18, v2
	v_pk_mov_b32 v[40:41], v[4:5], v[6:7] op_sel:[1,0]
	v_add_f32_e32 v15, v15, v38
	v_pk_mul_f32 v[40:41], v[22:23], v[40:41]
	v_add_f32_e32 v15, v15, v39
	s_waitcnt vmcnt(1)
	v_pk_mov_b32 v[42:43], v[6:7], v[8:9] op_sel:[1,0]
	v_add_f32_e32 v15, v15, v40
	v_pk_mul_f32 v[42:43], v[24:25], v[42:43]
	v_add_f32_e32 v15, v15, v41
	v_pk_mov_b32 v[44:45], v[8:9], v[10:11] op_sel:[1,0]
	v_add_f32_e32 v15, v15, v42
	v_pk_mul_f32 v[44:45], v[26:27], v[44:45]
	v_add_f32_e32 v15, v15, v43
	s_waitcnt vmcnt(0)
	v_pk_mov_b32 v[46:47], v[10:11], v[12:13] op_sel:[1,0]
	v_add_f32_e32 v15, v15, v44
	v_pk_mul_f32 v[46:47], v[28:29], v[46:47]
	v_add_f32_e32 v15, v15, v45
	v_mov_b32_e32 v48, v13
	v_mov_b32_e32 v49, v14
	v_add_f32_e32 v15, v15, v46
	v_pk_mul_f32 v[48:49], v[30:31], v[48:49]
	v_add_f32_e32 v15, v15, v47
	v_add_f32_e32 v15, v15, v48
	v_add_f32_e32 v15, v15, v49
	v_add_f32_e32 v15, v36, v15
	global_store_dword v34, v15, s[0:1]
	s_cbranch_scc1 .LBB18_6
; %bb.4:
	s_ashr_i32 s20, s9, 2
	s_ashr_i32 s21, s20, 31
	s_add_u32 s0, s6, -1
	s_addc_u32 s1, s7, -1
	s_add_u32 s2, s4, s3
	s_addc_u32 s3, s5, s11
	s_add_u32 s2, s2, s19
	s_addc_u32 s3, s3, s18
	v_lshl_add_u64 v[32:33], v[32:33], 2, s[2:3]
	s_lshl_b64 s[2:3], s[20:21], 2
	s_add_u32 s4, s8, s2
	s_addc_u32 s5, s17, s3
	s_add_u32 s6, s14, s10
	s_addc_u32 s7, s15, s13
	;; [unrolled: 2-line block ×3, first 2 shown]
	v_lshl_add_u64 v[32:33], v[32:33], 0, 60
	v_lshl_add_u64 v[34:35], s[4:5], 0, v[34:35]
	s_mov_b64 s[4:5], 1
	s_mov_b64 s[6:7], 0
	;; [unrolled: 1-line block ×16, first 2 shown]
.LBB18_5:                               ; =>This Inner Loop Header: Depth=1
	s_mul_i32 s40, s5, 0x88888889
	s_mul_hi_u32 s41, s4, 0x88888889
	s_mul_hi_u32 s39, s5, 0x88888889
	s_add_u32 s40, s40, s41
	s_mul_i32 s38, s4, 0x88888888
	s_addc_u32 s39, s39, 0
	s_mul_hi_u32 s33, s4, 0x88888888
	s_add_u32 s38, s38, s40
	s_addc_u32 s33, s33, 0
	s_add_u32 s33, s39, s33
	s_mul_i32 s43, s5, 0x88888888
	s_addc_u32 s39, 0, 0
	s_mul_hi_u32 s42, s5, 0x88888888
	s_add_u32 s38, s43, s33
	s_addc_u32 s39, s42, s39
	s_mul_i32 s47, s9, 0x88888889
	s_mul_hi_u32 s48, s8, 0x88888889
	s_lshr_b64 s[38:39], s[38:39], 3
	s_mul_hi_u32 s46, s9, 0x88888889
	s_add_u32 s39, s47, s48
	s_mul_i32 s45, s8, 0x88888888
	s_addc_u32 s40, s46, 0
	s_mul_hi_u32 s44, s8, 0x88888888
	s_add_u32 s39, s45, s39
	s_addc_u32 s41, s44, 0
	s_add_u32 s40, s40, s41
	s_mul_i32 s50, s9, 0x88888888
	s_addc_u32 s41, 0, 0
	s_mul_hi_u32 s49, s9, 0x88888888
	s_add_u32 s40, s50, s40
	s_addc_u32 s41, s49, s41
	s_mul_i32 s54, s11, 0x88888889
	s_mul_hi_u32 s55, s10, 0x88888889
	s_lshr_b64 s[40:41], s[40:41], 3
	;; [unrolled: 16-line block ×7, first 2 shown]
	s_mul_hi_u32 s41, s21, 0x88888889
	s_add_u32 s33, s52, s53
	s_mul_i32 s54, s20, 0x88888888
	s_addc_u32 s39, s41, 0
	s_mul_hi_u32 s83, s20, 0x88888888
	s_add_u32 s33, s54, s33
	s_addc_u32 s33, s83, 0
	s_add_u32 s33, s39, s33
	global_load_dword v19, v[32:33], off
	s_mul_i32 s56, s21, 0x88888888
	s_addc_u32 s39, 0, 0
	s_mul_hi_u32 s55, s21, 0x88888888
	s_add_u32 s52, s56, s33
	s_addc_u32 s53, s55, s39
	s_mul_i32 s59, s23, 0x88888889
	s_mul_hi_u32 s60, s22, 0x88888889
	s_lshr_b64 s[52:53], s[52:53], 3
	s_mul_hi_u32 s58, s23, 0x88888889
	s_add_u32 s33, s59, s60
	s_mul_i32 s57, s22, 0x88888888
	s_addc_u32 s39, s58, 0
	s_mul_hi_u32 s43, s22, 0x88888888
	s_add_u32 s33, s57, s33
	s_addc_u32 s33, s43, 0
	s_add_u32 s33, s39, s33
	s_mul_i32 s61, s23, 0x88888888
	s_addc_u32 s39, 0, 0
	s_mul_hi_u32 s45, s23, 0x88888888
	s_add_u32 s54, s61, s33
	s_addc_u32 s55, s45, s39
	s_mul_i32 s47, s25, 0x88888889
	s_mul_hi_u32 s65, s24, 0x88888889
	s_lshr_b64 s[54:55], s[54:55], 3
	s_mul_hi_u32 s64, s25, 0x88888889
	s_add_u32 s41, s47, s65
	s_mul_i32 s63, s24, 0x88888888
	s_addc_u32 s45, s64, 0
	s_mul_hi_u32 s62, s24, 0x88888888
	s_add_u32 s41, s63, s41
	s_addc_u32 s47, s62, 0
	s_add_u32 s45, s45, s47
	;; [unrolled: 16-line block ×5, first 2 shown]
	s_mul_i32 s49, s31, 0x88888888
	s_addc_u32 s39, 0, 0
	s_mul_hi_u32 s47, s31, 0x88888888
	s_mul_i32 s60, s38, 15
	s_mul_i32 s38, s40, 15
	;; [unrolled: 1-line block ×12, first 2 shown]
	s_add_u32 s76, s49, s33
	s_addc_u32 s77, s47, s39
	s_mul_i32 s57, s35, 0x88888889
	s_mul_hi_u32 s59, s34, 0x88888889
	s_lshr_b64 s[76:77], s[76:77], 3
	s_mul_hi_u32 s55, s35, 0x88888889
	s_add_u32 s39, s57, s59
	s_mul_i32 s53, s34, 0x88888888
	s_addc_u32 s41, s55, 0
	s_mul_hi_u32 s51, s34, 0x88888888
	s_add_u32 s39, s53, s39
	s_addc_u32 s39, s51, 0
	s_add_u32 s39, s41, s39
	s_mul_i32 s63, s35, 0x88888888
	s_addc_u32 s41, 0, 0
	s_mul_hi_u32 s61, s35, 0x88888888
	s_mul_i32 s33, s76, 15
	s_add_u32 s76, s63, s39
	s_addc_u32 s77, s61, s41
	s_mul_i32 s69, s37, 0x88888889
	s_mul_hi_u32 s73, s36, 0x88888889
	s_lshr_b64 s[76:77], s[76:77], 3
	s_mul_hi_u32 s66, s37, 0x88888889
	s_add_u32 s41, s69, s73
	s_mul_i32 s64, s36, 0x88888888
	s_addc_u32 s43, s66, 0
	s_mul_hi_u32 s62, s36, 0x88888888
	s_add_u32 s41, s64, s41
	s_addc_u32 s41, s62, 0
	s_add_u32 s41, s43, s41
	s_mul_i32 s70, s37, 0x88888888
	s_addc_u32 s43, 0, 0
	s_mul_hi_u32 s67, s37, 0x88888888
	s_add_u32 s62, s70, s41
	s_addc_u32 s63, s67, s43
	s_mul_i32 s74, s7, 0x88888889
	s_mul_hi_u32 s75, s6, 0x88888889
	s_lshr_b64 s[62:63], s[62:63], 3
	s_mul_hi_u32 s71, s7, 0x88888889
	s_add_u32 s43, s74, s75
	s_mul_i32 s68, s6, 0x88888888
	s_addc_u32 s45, s71, 0
	s_mul_hi_u32 s65, s6, 0x88888888
	s_add_u32 s43, s68, s43
	s_addc_u32 s43, s65, 0
	s_add_u32 s43, s45, s43
	s_mul_i32 s78, s7, 0x88888888
	s_addc_u32 s45, 0, 0
	s_mul_hi_u32 s72, s7, 0x88888888
	s_mul_i32 s41, s62, 15
	s_add_u32 s62, s78, s43
	s_addc_u32 s63, s72, s45
	s_sub_i32 s43, s6, s60
	s_lshr_b64 s[60:61], s[62:63], 3
	s_mul_i32 s45, s60, -15
	s_add_i32 s43, s43, 1
	s_add_i32 s45, s6, s45
	s_mul_i32 s39, s76, 15
	s_waitcnt vmcnt(0)
	s_set_gpr_idx_on s45, gpr_idx(DST)
	v_mov_b32_e32 v0, v19
	s_set_gpr_idx_off
	s_add_u32 s4, s4, 1
	s_set_gpr_idx_on s43, gpr_idx(SRC0)
	v_mov_b32_e32 v19, v0
	s_set_gpr_idx_off
	s_addc_u32 s5, s5, 0
	s_sub_i32 s41, s6, s41
	s_sub_i32 s39, s6, s39
	;; [unrolled: 1-line block ×14, first 2 shown]
	s_add_i32 s41, s41, 2
	s_add_i32 s39, s39, 3
	;; [unrolled: 1-line block ×14, first 2 shown]
	s_add_u32 s6, s6, 1
	s_addc_u32 s7, s7, 0
	s_add_u32 s8, s8, 1
	s_addc_u32 s9, s9, 0
	;; [unrolled: 2-line block ×6, first 2 shown]
	v_fma_f32 v19, v16, v19, 0
	s_set_gpr_idx_on s41, gpr_idx(SRC0)
	v_mov_b32_e32 v37, v0
	s_set_gpr_idx_off
	s_add_u32 s18, s18, 1
	v_fmac_f32_e32 v19, v17, v37
	s_set_gpr_idx_on s39, gpr_idx(SRC0)
	v_mov_b32_e32 v37, v0
	s_set_gpr_idx_off
	s_addc_u32 s19, s19, 0
	v_fmac_f32_e32 v19, v18, v37
	s_set_gpr_idx_on s33, gpr_idx(SRC0)
	v_mov_b32_e32 v38, v0
	s_set_gpr_idx_off
	s_add_u32 s20, s20, 1
	s_set_gpr_idx_on s43, gpr_idx(SRC0)
	v_mov_b32_e32 v39, v0
	s_set_gpr_idx_off
	s_addc_u32 s21, s21, 0
	v_pk_mul_f32 v[38:39], v[20:21], v[38:39]
	s_set_gpr_idx_on s45, gpr_idx(SRC0)
	v_mov_b32_e32 v40, v0
	s_set_gpr_idx_off
	s_add_u32 s22, s22, 1
	v_add_f32_e32 v19, v19, v38
	s_set_gpr_idx_on s47, gpr_idx(SRC0)
	v_mov_b32_e32 v41, v0
	s_set_gpr_idx_off
	s_addc_u32 s23, s23, 0
	v_add_f32_e32 v19, v19, v39
	v_pk_mul_f32 v[38:39], v[22:23], v[40:41]
	s_set_gpr_idx_on s49, gpr_idx(SRC0)
	v_mov_b32_e32 v40, v0
	s_set_gpr_idx_off
	s_add_u32 s24, s24, 1
	v_add_f32_e32 v19, v19, v38
	s_set_gpr_idx_on s50, gpr_idx(SRC0)
	v_mov_b32_e32 v41, v0
	s_set_gpr_idx_off
	s_addc_u32 s25, s25, 0
	v_add_f32_e32 v19, v19, v39
	;; [unrolled: 11-line block ×5, first 2 shown]
	v_pk_mul_f32 v[38:39], v[30:31], v[40:41]
	s_add_u32 s34, s34, 1
	v_add_f32_e32 v19, v19, v38
	s_addc_u32 s35, s35, 0
	v_add_f32_e32 v19, v19, v39
	s_add_u32 s36, s36, 1
	v_add_f32_e32 v19, v36, v19
	s_addc_u32 s37, s37, 0
	v_lshl_add_u64 v[32:33], v[32:33], 0, 4
	global_store_dword v[34:35], v19, off
	s_cmp_eq_u64 s[0:1], s[6:7]
	v_lshl_add_u64 v[34:35], v[34:35], 0, s[2:3]
	s_cbranch_scc0 .LBB18_5
.LBB18_6:
	s_endpgm
	.section	.rodata,"a",@progbits
	.p2align	6, 0x0
	.amdhsa_kernel _ZL12ssm_conv_f32ILb0ELm128ELm15EEvPKfS1_S1_iiiiPfiiil
		.amdhsa_group_segment_fixed_size 0
		.amdhsa_private_segment_fixed_size 0
		.amdhsa_kernarg_size 72
		.amdhsa_user_sgpr_count 2
		.amdhsa_user_sgpr_dispatch_ptr 0
		.amdhsa_user_sgpr_queue_ptr 0
		.amdhsa_user_sgpr_kernarg_segment_ptr 1
		.amdhsa_user_sgpr_dispatch_id 0
		.amdhsa_user_sgpr_kernarg_preload_length 0
		.amdhsa_user_sgpr_kernarg_preload_offset 0
		.amdhsa_user_sgpr_private_segment_size 0
		.amdhsa_uses_dynamic_stack 0
		.amdhsa_enable_private_segment 0
		.amdhsa_system_sgpr_workgroup_id_x 1
		.amdhsa_system_sgpr_workgroup_id_y 1
		.amdhsa_system_sgpr_workgroup_id_z 0
		.amdhsa_system_sgpr_workgroup_info 0
		.amdhsa_system_vgpr_workitem_id 0
		.amdhsa_next_free_vgpr 50
		.amdhsa_next_free_sgpr 84
		.amdhsa_accum_offset 52
		.amdhsa_reserve_vcc 1
		.amdhsa_float_round_mode_32 0
		.amdhsa_float_round_mode_16_64 0
		.amdhsa_float_denorm_mode_32 3
		.amdhsa_float_denorm_mode_16_64 3
		.amdhsa_dx10_clamp 1
		.amdhsa_ieee_mode 1
		.amdhsa_fp16_overflow 0
		.amdhsa_tg_split 0
		.amdhsa_exception_fp_ieee_invalid_op 0
		.amdhsa_exception_fp_denorm_src 0
		.amdhsa_exception_fp_ieee_div_zero 0
		.amdhsa_exception_fp_ieee_overflow 0
		.amdhsa_exception_fp_ieee_underflow 0
		.amdhsa_exception_fp_ieee_inexact 0
		.amdhsa_exception_int_div_zero 0
	.end_amdhsa_kernel
	.section	.text._ZL12ssm_conv_f32ILb0ELm128ELm15EEvPKfS1_S1_iiiiPfiiil,"axG",@progbits,_ZL12ssm_conv_f32ILb0ELm128ELm15EEvPKfS1_S1_iiiiPfiiil,comdat
.Lfunc_end18:
	.size	_ZL12ssm_conv_f32ILb0ELm128ELm15EEvPKfS1_S1_iiiiPfiiil, .Lfunc_end18-_ZL12ssm_conv_f32ILb0ELm128ELm15EEvPKfS1_S1_iiiiPfiiil
                                        ; -- End function
	.set _ZL12ssm_conv_f32ILb0ELm128ELm15EEvPKfS1_S1_iiiiPfiiil.num_vgpr, 50
	.set _ZL12ssm_conv_f32ILb0ELm128ELm15EEvPKfS1_S1_iiiiPfiiil.num_agpr, 0
	.set _ZL12ssm_conv_f32ILb0ELm128ELm15EEvPKfS1_S1_iiiiPfiiil.numbered_sgpr, 84
	.set _ZL12ssm_conv_f32ILb0ELm128ELm15EEvPKfS1_S1_iiiiPfiiil.num_named_barrier, 0
	.set _ZL12ssm_conv_f32ILb0ELm128ELm15EEvPKfS1_S1_iiiiPfiiil.private_seg_size, 0
	.set _ZL12ssm_conv_f32ILb0ELm128ELm15EEvPKfS1_S1_iiiiPfiiil.uses_vcc, 1
	.set _ZL12ssm_conv_f32ILb0ELm128ELm15EEvPKfS1_S1_iiiiPfiiil.uses_flat_scratch, 0
	.set _ZL12ssm_conv_f32ILb0ELm128ELm15EEvPKfS1_S1_iiiiPfiiil.has_dyn_sized_stack, 0
	.set _ZL12ssm_conv_f32ILb0ELm128ELm15EEvPKfS1_S1_iiiiPfiiil.has_recursion, 0
	.set _ZL12ssm_conv_f32ILb0ELm128ELm15EEvPKfS1_S1_iiiiPfiiil.has_indirect_call, 0
	.section	.AMDGPU.csdata,"",@progbits
; Kernel info:
; codeLenInByte = 2964
; TotalNumSgprs: 90
; NumVgprs: 50
; NumAgprs: 0
; TotalNumVgprs: 50
; ScratchSize: 0
; MemoryBound: 0
; FloatMode: 240
; IeeeMode: 1
; LDSByteSize: 0 bytes/workgroup (compile time only)
; SGPRBlocks: 11
; VGPRBlocks: 6
; NumSGPRsForWavesPerEU: 90
; NumVGPRsForWavesPerEU: 50
; AccumOffset: 52
; Occupancy: 8
; WaveLimiterHint : 0
; COMPUTE_PGM_RSRC2:SCRATCH_EN: 0
; COMPUTE_PGM_RSRC2:USER_SGPR: 2
; COMPUTE_PGM_RSRC2:TRAP_HANDLER: 0
; COMPUTE_PGM_RSRC2:TGID_X_EN: 1
; COMPUTE_PGM_RSRC2:TGID_Y_EN: 1
; COMPUTE_PGM_RSRC2:TGID_Z_EN: 0
; COMPUTE_PGM_RSRC2:TIDIG_COMP_CNT: 0
; COMPUTE_PGM_RSRC3_GFX90A:ACCUM_OFFSET: 12
; COMPUTE_PGM_RSRC3_GFX90A:TG_SPLIT: 0
	.section	.text._ZL23ssm_conv_long_token_f32ILb0ELm128ELm15ELl32EEvPKfS1_S1_iiiiPfiiil,"axG",@progbits,_ZL23ssm_conv_long_token_f32ILb0ELm128ELm15ELl32EEvPKfS1_S1_iiiiPfiiil,comdat
	.globl	_ZL23ssm_conv_long_token_f32ILb0ELm128ELm15ELl32EEvPKfS1_S1_iiiiPfiiil ; -- Begin function _ZL23ssm_conv_long_token_f32ILb0ELm128ELm15ELl32EEvPKfS1_S1_iiiiPfiiil
	.p2align	8
	.type	_ZL23ssm_conv_long_token_f32ILb0ELm128ELm15ELl32EEvPKfS1_S1_iiiiPfiiil,@function
_ZL23ssm_conv_long_token_f32ILb0ELm128ELm15ELl32EEvPKfS1_S1_iiiiPfiiil: ; @_ZL23ssm_conv_long_token_f32ILb0ELm128ELm15ELl32EEvPKfS1_S1_iiiiPfiiil
; %bb.0:
	s_load_dwordx4 s[8:11], s[0:1], 0x18
	s_load_dwordx2 s[12:13], s[0:1], 0x0
	s_mov_b32 s6, s3
	v_mul_u32_u24_e32 v1, 0x591, v0
	v_lshrrev_b32_e32 v1, 16, v1
	s_waitcnt lgkmcnt(0)
	s_mul_i32 s3, s10, s2
	s_ashr_i32 s5, s3, 31
	s_add_u32 s3, s12, s3
	s_addc_u32 s5, s13, s5
	s_ashr_i32 s7, s6, 31
	s_lshl_b64 s[12:13], s[6:7], 7
	s_ashr_i32 s10, s9, 31
	s_mul_i32 s10, s12, s10
	s_mul_hi_u32 s14, s12, s9
	s_lshr_b64 s[6:7], s[6:7], 25
	s_add_i32 s10, s14, s10
	s_mul_i32 s6, s6, s9
	s_add_i32 s10, s10, s6
	s_mul_i32 s6, s12, s9
	s_add_u32 s3, s3, s6
	s_addc_u32 s6, s5, s10
	s_ashr_i32 s5, s4, 31
	s_lshl_b64 s[14:15], s[4:5], 5
	s_ashr_i32 s7, s8, 31
	s_mul_i32 s7, s14, s7
	s_mul_hi_u32 s10, s14, s8
	s_lshr_b64 s[4:5], s[4:5], 27
	s_add_i32 s7, s10, s7
	s_mul_i32 s4, s4, s8
	s_add_i32 s7, s7, s4
	s_mul_i32 s4, s14, s8
	s_add_u32 s16, s3, s4
	v_mul_lo_u16_e32 v2, 46, v1
	s_addc_u32 s17, s6, s7
	s_ashr_i32 s3, s9, 2
	v_sub_u16_e32 v4, v0, v2
	v_mad_u64_u32 v[2:3], s[4:5], s3, v1, v[4:5]
	v_ashrrev_i32_e32 v3, 31, v2
	v_lshl_add_u64 v[2:3], v[2:3], 2, s[16:17]
	global_load_dword v3, v[2:3], off
	v_or_b32_e32 v2, 0xffffff80, v4
	v_lshrrev_b16_e32 v5, 1, v2
	v_and_b32_e32 v5, 0x7f, v5
	v_mul_lo_u16_e32 v5, 0xb3, v5
	v_lshrrev_b16_e32 v5, 12, v5
	v_add_u32_e32 v9, v1, v5
	v_mul_lo_u16_e32 v5, 46, v5
	v_sub_u16_e32 v5, v2, v5
	v_and_b32_e32 v2, 0xff, v5
	v_or_b32_e32 v5, 0xffffff80, v5
	v_lshrrev_b16_e32 v8, 1, v5
	v_and_b32_e32 v8, 0x7f, v8
	v_mul_lo_u16_e32 v8, 0xb3, v8
	v_lshrrev_b16_e32 v8, 12, v8
	v_add_u32_e32 v13, v9, v8
	v_mul_lo_u16_e32 v8, 46, v8
	v_sub_u16_e32 v5, v5, v8
	v_and_b32_e32 v8, 0xff, v5
	;; [unrolled: 9-line block ×4, first 2 shown]
	v_mad_u64_u32 v[10:11], s[4:5], v13, s3, v[8:9]
	v_mad_u64_u32 v[14:15], s[4:5], v17, s3, v[12:13]
	;; [unrolled: 1-line block ×3, first 2 shown]
	v_ashrrev_i32_e32 v11, 31, v10
	v_ashrrev_i32_e32 v15, 31, v14
	;; [unrolled: 1-line block ×3, first 2 shown]
	v_or_b32_e32 v5, 0xffffff80, v5
	v_lshl_add_u64 v[10:11], v[10:11], 2, s[16:17]
	v_lshl_add_u64 v[14:15], v[14:15], 2, s[16:17]
	;; [unrolled: 1-line block ×3, first 2 shown]
	v_mul_u32_u24_e32 v1, 0xb8, v1
	v_lshlrev_b32_e32 v4, 2, v4
	v_add3_u32 v1, 0, v1, v4
	s_movk_i32 s6, 0xb8
	s_movk_i32 s7, 0x80
	s_waitcnt vmcnt(0)
	v_mad_u64_u32 v[6:7], s[4:5], v9, s3, v[2:3]
	v_ashrrev_i32_e32 v7, 31, v6
	v_lshl_add_u64 v[6:7], v[6:7], 2, s[16:17]
	global_load_dword v21, v[6:7], off
	global_load_dword v22, v[10:11], off
	;; [unrolled: 1-line block ×4, first 2 shown]
	v_lshrrev_b16_e32 v6, 1, v5
	v_and_b32_e32 v6, 0x7f, v6
	v_mul_lo_u16_e32 v6, 0xb3, v6
	v_lshrrev_b16_e32 v6, 12, v6
	v_add_u32_e32 v7, v20, v6
	v_mul_lo_u16_e32 v6, 46, v6
	v_sub_u16_e32 v5, v5, v6
	v_and_b32_e32 v6, 0xff, v5
	v_mad_u64_u32 v[10:11], s[4:5], v7, s3, v[6:7]
	v_ashrrev_i32_e32 v11, 31, v10
	v_lshl_add_u64 v[10:11], v[10:11], 2, s[16:17]
	global_load_dword v15, v[10:11], off
	v_or_b32_e32 v4, 0xffffff80, v5
	v_lshrrev_b16_e32 v5, 1, v4
	v_and_b32_e32 v5, 0x7f, v5
	v_mul_lo_u16_e32 v5, 0xb3, v5
	v_lshrrev_b16_e32 v5, 12, v5
	v_add_u32_e32 v25, v7, v5
	v_mul_lo_u16_e32 v5, 46, v5
	v_sub_u16_e32 v5, v4, v5
	v_and_b32_e32 v4, 0xff, v5
	v_mad_u64_u32 v[10:11], s[4:5], v25, s3, v[4:5]
	v_or_b32_e32 v5, 0xffffff80, v5
	v_lshrrev_b16_e32 v14, 1, v5
	v_and_b32_e32 v14, 0x7f, v14
	v_mul_lo_u16_e32 v14, 0xb3, v14
	v_lshrrev_b16_e32 v14, 12, v14
	v_add_u32_e32 v26, v25, v14
	v_mul_lo_u16_e32 v14, 46, v14
	v_sub_u16_e32 v5, v5, v14
	v_and_b32_e32 v14, 0xff, v5
	v_ashrrev_i32_e32 v11, 31, v10
	v_lshl_add_u64 v[10:11], v[10:11], 2, s[16:17]
	v_lshlrev_b32_e32 v2, 2, v2
	v_lshlrev_b32_e32 v4, 2, v4
	s_waitcnt vmcnt(0)
	v_mad_u64_u32 v[18:19], s[4:5], v26, s3, v[14:15]
	v_ashrrev_i32_e32 v19, 31, v18
	v_lshl_add_u64 v[18:19], v[18:19], 2, s[16:17]
	global_load_dword v27, v[10:11], off
	global_load_dword v28, v[18:19], off
	ds_write_b32 v1, v3
	v_mul_u32_u24_e32 v1, 0xb8, v9
	v_add3_u32 v1, 0, v1, v2
	ds_write_b32 v1, v21
	v_mul_u32_u24_e32 v1, 0xb8, v13
	v_lshlrev_b32_e32 v2, 2, v8
	v_add3_u32 v1, 0, v1, v2
	ds_write_b32 v1, v22
	v_mul_u32_u24_e32 v1, 0xb8, v17
	v_lshlrev_b32_e32 v2, 2, v12
	;; [unrolled: 4-line block ×4, first 2 shown]
	v_add3_u32 v1, 0, v1, v2
	ds_write_b32 v1, v15
	v_or_b32_e32 v1, 0xffffff80, v5
	v_lshrrev_b16_e32 v2, 1, v1
	v_and_b32_e32 v2, 0x7f, v2
	v_mul_lo_u16_e32 v2, 0xb3, v2
	v_lshrrev_b16_e32 v2, 12, v2
	v_add_u32_e32 v3, v26, v2
	v_mul_lo_u16_e32 v2, 46, v2
	v_sub_u16_e32 v1, v1, v2
	v_and_b32_e32 v2, 0xff, v1
	v_or_b32_e32 v1, 0xffffff80, v1
	v_lshrrev_b16_e32 v5, 1, v1
	v_and_b32_e32 v5, 0x7f, v5
	v_mul_lo_u16_e32 v5, 0xb3, v5
	v_lshrrev_b16_e32 v5, 12, v5
	v_add_u32_e32 v29, v3, v5
	v_mul_lo_u16_e32 v5, 46, v5
	v_sub_u16_e32 v1, v1, v5
	v_and_b32_e32 v10, 0xff, v1
	;; [unrolled: 9-line block ×3, first 2 shown]
	v_or_b32_e32 v1, 0xffffff80, v1
	v_lshrrev_b16_e32 v5, 1, v1
	v_mad_u64_u32 v[6:7], s[4:5], v3, s3, v[2:3]
	v_mad_u64_u32 v[16:17], s[4:5], v30, s3, v[12:13]
	v_and_b32_e32 v5, 0x7f, v5
	v_ashrrev_i32_e32 v7, 31, v6
	v_mad_u64_u32 v[8:9], s[4:5], v29, s3, v[10:11]
	v_ashrrev_i32_e32 v17, 31, v16
	v_mul_lo_u16_e32 v5, 0xb3, v5
	v_lshl_add_u64 v[6:7], v[6:7], 2, s[16:17]
	v_ashrrev_i32_e32 v9, 31, v8
	v_lshl_add_u64 v[16:17], v[16:17], 2, s[16:17]
	v_lshrrev_b16_e32 v5, 12, v5
	v_lshl_add_u64 v[8:9], v[8:9], 2, s[16:17]
	global_load_dword v31, v[6:7], off
	global_load_dword v32, v[8:9], off
	;; [unrolled: 1-line block ×3, first 2 shown]
	v_add_u32_e32 v17, v30, v5
	v_mul_lo_u16_e32 v5, 46, v5
	v_sub_u16_e32 v1, v1, v5
	v_mul_lo_u32 v5, v25, s6
	v_add3_u32 v4, 0, v5, v4
	v_mul_lo_u32 v3, v3, s6
	v_lshlrev_b32_e32 v2, 2, v2
	v_and_b32_e32 v16, 0xff, v1
	v_lshlrev_b32_e32 v5, 2, v14
	v_mad_u64_u32 v[6:7], s[4:5], v17, s3, v[16:17]
	v_ashrrev_i32_e32 v7, 31, v6
	v_lshl_add_u64 v[6:7], v[6:7], 2, s[16:17]
	s_waitcnt vmcnt(4)
	ds_write_b32 v4, v27
	v_mul_lo_u32 v4, v26, s6
	v_add3_u32 v26, 0, v3, v2
	v_or_b32_e32 v2, 0xffffff80, v1
	v_lshrrev_b16_e32 v1, 1, v2
	v_and_b32_e32 v1, 0x7f, v1
	v_mul_lo_u16_e32 v1, 0xb3, v1
	v_lshrrev_b16_e32 v3, 12, v1
	v_add_u32_e32 v1, v17, v3
	v_mul_lo_u16_e32 v3, 46, v3
	v_sub_u16_e32 v3, v2, v3
	v_add3_u32 v4, 0, v4, v5
	v_and_b32_e32 v2, 0xff, v3
	s_waitcnt vmcnt(3)
	ds_write_b32 v4, v28
	v_mad_u64_u32 v[4:5], s[4:5], v1, s3, v[2:3]
	v_ashrrev_i32_e32 v5, 31, v4
	v_lshl_add_u64 v[18:19], v[4:5], 2, s[16:17]
	v_or_b32_e32 v4, 0xffffff80, v3
	v_lshrrev_b16_e32 v3, 1, v4
	v_and_b32_e32 v3, 0x7f, v3
	v_mul_lo_u16_e32 v3, 0xb3, v3
	v_lshrrev_b16_e32 v5, 12, v3
	v_add_u32_e32 v3, v1, v5
	v_mul_lo_u16_e32 v5, 46, v5
	v_sub_u16_e32 v5, v4, v5
	v_and_b32_e32 v4, 0xff, v5
	global_load_dword v34, v[6:7], off
	v_mad_u64_u32 v[6:7], s[4:5], v3, s3, v[4:5]
	v_ashrrev_i32_e32 v7, 31, v6
	v_lshl_add_u64 v[20:21], v[6:7], 2, s[16:17]
	v_or_b32_e32 v6, 0xffffff80, v5
	v_lshrrev_b16_e32 v5, 1, v6
	v_and_b32_e32 v5, 0x7f, v5
	v_mul_lo_u16_e32 v5, 0xb3, v5
	v_lshrrev_b16_e32 v7, 12, v5
	v_add_u32_e32 v5, v3, v7
	v_mul_lo_u16_e32 v7, 46, v7
	v_sub_u16_e32 v7, v6, v7
	v_and_b32_e32 v6, 0xff, v7
	v_mad_u64_u32 v[8:9], s[4:5], v5, s3, v[6:7]
	v_ashrrev_i32_e32 v9, 31, v8
	v_lshl_add_u64 v[22:23], v[8:9], 2, s[16:17]
	v_or_b32_e32 v8, 0xffffff80, v7
	v_lshrrev_b16_e32 v7, 1, v8
	v_and_b32_e32 v7, 0x7f, v7
	v_mul_lo_u16_e32 v7, 0xb3, v7
	v_lshrrev_b16_e32 v9, 12, v7
	v_add_u32_e32 v7, v5, v9
	v_mul_lo_u16_e32 v9, 46, v9
	v_sub_u16_e32 v27, v8, v9
	v_and_b32_e32 v8, 0xff, v27
	v_mad_u64_u32 v[14:15], s[4:5], v7, s3, v[8:9]
	v_ashrrev_i32_e32 v15, 31, v14
	v_lshl_add_u64 v[24:25], v[14:15], 2, s[16:17]
	global_load_dword v15, v[18:19], off
	global_load_dword v13, v[20:21], off
	;; [unrolled: 1-line block ×4, first 2 shown]
	v_mul_lo_u32 v14, v29, s6
	v_lshlrev_b32_e32 v10, 2, v10
	v_add3_u32 v10, 0, v14, v10
	v_lshlrev_b32_e32 v12, 2, v12
	v_lshlrev_b32_e32 v2, 2, v2
	s_waitcnt vmcnt(7)
	ds_write_b32 v26, v31
	s_waitcnt vmcnt(6)
	ds_write_b32 v10, v32
	v_mul_lo_u32 v10, v30, s6
	v_add3_u32 v10, 0, v10, v12
	s_waitcnt vmcnt(5)
	ds_write_b32 v10, v33
	v_mul_lo_u32 v10, v17, s6
	v_lshlrev_b32_e32 v12, 2, v16
	v_add3_u32 v10, 0, v10, v12
	v_mul_lo_u32 v1, v1, s6
	v_add3_u32 v1, 0, v1, v2
	v_lshlrev_b32_e32 v2, 2, v4
	s_waitcnt vmcnt(4)
	ds_write_b32 v10, v34
	v_or_b32_e32 v10, 0xffffff80, v27
	v_lshrrev_b16_e32 v12, 1, v10
	v_and_b32_e32 v12, 0x7f, v12
	v_mul_lo_u16_e32 v12, 0xb3, v12
	v_lshrrev_b16_e32 v12, 12, v12
	v_add_u32_e32 v42, v7, v12
	v_mul_lo_u16_e32 v12, 46, v12
	v_sub_u16_e32 v12, v10, v12
	v_and_b32_e32 v10, 0xff, v12
	v_or_b32_e32 v12, 0xffffff80, v12
	v_lshrrev_b16_e32 v14, 1, v12
	v_and_b32_e32 v14, 0x7f, v14
	v_mul_lo_u16_e32 v14, 0xb3, v14
	v_lshrrev_b16_e32 v14, 12, v14
	v_add_u32_e32 v43, v42, v14
	v_mul_lo_u16_e32 v14, 46, v14
	v_sub_u16_e32 v14, v12, v14
	v_and_b32_e32 v12, 0xff, v14
	v_or_b32_e32 v14, 0xffffff80, v14
	s_waitcnt vmcnt(1)
	v_mad_u64_u32 v[16:17], s[4:5], v42, s3, v[10:11]
	v_ashrrev_i32_e32 v17, 31, v16
	v_lshl_add_u64 v[22:23], v[16:17], 2, s[16:17]
	v_mad_u64_u32 v[16:17], s[4:5], v43, s3, v[12:13]
	v_ashrrev_i32_e32 v17, 31, v16
	v_lshl_add_u64 v[28:29], v[16:17], 2, s[16:17]
	v_lshrrev_b16_e32 v16, 1, v14
	v_and_b32_e32 v16, 0x7f, v16
	v_mul_lo_u16_e32 v16, 0xb3, v16
	v_lshrrev_b16_e32 v16, 12, v16
	v_add_u32_e32 v44, v43, v16
	v_mul_lo_u16_e32 v16, 46, v16
	v_sub_u16_e32 v18, v14, v16
	v_and_b32_e32 v14, 0xff, v18
	v_mad_u64_u32 v[16:17], s[4:5], v44, s3, v[14:15]
	v_ashrrev_i32_e32 v17, 31, v16
	v_lshl_add_u64 v[30:31], v[16:17], 2, s[16:17]
	v_or_b32_e32 v16, 0xffffff80, v18
	v_lshrrev_b16_e32 v17, 1, v16
	v_and_b32_e32 v17, 0x7f, v17
	v_mul_lo_u16_e32 v17, 0xb3, v17
	v_lshrrev_b16_e32 v17, 12, v17
	v_add_u32_e32 v45, v44, v17
	v_mul_lo_u16_e32 v17, 46, v17
	v_sub_u16_e32 v17, v16, v17
	v_and_b32_e32 v16, 0xff, v17
	v_mad_u64_u32 v[18:19], s[4:5], v45, s3, v[16:17]
	v_ashrrev_i32_e32 v19, 31, v18
	v_or_b32_e32 v17, 0xffffff80, v17
	v_lshl_add_u64 v[32:33], v[18:19], 2, s[16:17]
	v_lshrrev_b16_e32 v18, 1, v17
	v_and_b32_e32 v18, 0x7f, v18
	v_mul_lo_u16_e32 v18, 0xb3, v18
	v_lshrrev_b16_e32 v18, 12, v18
	v_add_u32_e32 v19, v45, v18
	v_mul_lo_u16_e32 v18, 46, v18
	v_sub_u16_e32 v17, v17, v18
	v_and_b32_e32 v18, 0xff, v17
	v_mad_u64_u32 v[20:21], s[4:5], v19, s3, v[18:19]
	v_ashrrev_i32_e32 v21, 31, v20
	v_or_b32_e32 v17, 0xffffff80, v17
	v_lshl_add_u64 v[34:35], v[20:21], 2, s[16:17]
	;; [unrolled: 12-line block ×5, first 2 shown]
	global_load_dword v46, v[22:23], off
	global_load_dword v47, v[28:29], off
	;; [unrolled: 1-line block ×8, first 2 shown]
	v_lshrrev_b16_e32 v22, 1, v17
	v_and_b32_e32 v22, 0x7f, v22
	v_mul_lo_u16_e32 v22, 0xb3, v22
	v_lshrrev_b16_e32 v22, 12, v22
	v_add_u32_e32 v23, v27, v22
	v_mul_lo_u16_e32 v22, 46, v22
	v_sub_u16_e32 v17, v17, v22
	v_and_b32_e32 v22, 0xff, v17
	v_or_b32_e32 v17, 0xffffff80, v17
	v_lshrrev_b16_e32 v30, 1, v17
	v_and_b32_e32 v30, 0x7f, v30
	v_mul_lo_u16_e32 v30, 0xb3, v30
	v_lshrrev_b16_e32 v30, 12, v30
	v_add_u32_e32 v31, v23, v30
	v_mul_lo_u16_e32 v30, 46, v30
	v_sub_u16_e32 v17, v17, v30
	v_mad_u64_u32 v[28:29], s[4:5], v23, s3, v[22:23]
	v_and_b32_e32 v30, 0xff, v17
	v_ashrrev_i32_e32 v29, 31, v28
	v_mad_u64_u32 v[32:33], s[4:5], v31, s3, v[30:31]
	v_lshl_add_u64 v[28:29], v[28:29], 2, s[16:17]
	v_ashrrev_i32_e32 v33, 31, v32
	v_or_b32_e32 v17, 0xffffff80, v17
	v_lshl_add_u64 v[32:33], v[32:33], 2, s[16:17]
	global_load_dword v34, v[28:29], off
	global_load_dword v35, v[32:33], off
	v_lshrrev_b16_e32 v28, 1, v17
	v_and_b32_e32 v28, 0x7f, v28
	v_mul_lo_u16_e32 v28, 0xb3, v28
	v_lshrrev_b16_e32 v28, 12, v28
	v_add_u32_e32 v29, v31, v28
	v_mul_lo_u16_e32 v28, 46, v28
	v_sub_u16_e32 v17, v17, v28
	v_and_b32_e32 v28, 0xff, v17
	v_mad_u64_u32 v[32:33], s[4:5], v29, s3, v[28:29]
	v_ashrrev_i32_e32 v33, 31, v32
	v_lshl_add_u64 v[32:33], v[32:33], 2, s[16:17]
	global_load_dword v32, v[32:33], off
	ds_write_b32 v1, v15
	v_mul_lo_u32 v1, v3, s6
	v_add3_u32 v1, 0, v1, v2
	ds_write_b32 v1, v13
	v_mul_lo_u32 v1, v5, s6
	v_lshlrev_b32_e32 v2, 2, v6
	v_add3_u32 v1, 0, v1, v2
	ds_write_b32 v1, v11
	v_mul_lo_u32 v1, v7, s6
	v_lshlrev_b32_e32 v2, 2, v8
	v_add3_u32 v1, 0, v1, v2
	s_waitcnt vmcnt(11)
	ds_write_b32 v1, v9
	v_mul_lo_u32 v1, v42, s6
	v_lshlrev_b32_e32 v2, 2, v10
	v_add3_u32 v1, 0, v1, v2
	v_lshlrev_b32_e32 v2, 2, v12
	s_waitcnt vmcnt(10)
	ds_write_b32 v1, v46
	v_mul_lo_u32 v1, v43, s6
	v_add3_u32 v1, 0, v1, v2
	s_waitcnt vmcnt(9)
	ds_write_b32 v1, v47
	v_mul_lo_u32 v1, v44, s6
	v_lshlrev_b32_e32 v2, 2, v14
	v_add3_u32 v1, 0, v1, v2
	s_waitcnt vmcnt(8)
	ds_write_b32 v1, v48
	v_mul_lo_u32 v1, v45, s6
	v_lshlrev_b32_e32 v2, 2, v16
	;; [unrolled: 5-line block ×7, first 2 shown]
	v_add3_u32 v1, 0, v1, v2
	v_lshlrev_b32_e32 v2, 2, v30
	s_waitcnt vmcnt(2)
	ds_write_b32 v1, v34
	v_mul_lo_u32 v1, v31, s6
	v_add3_u32 v1, 0, v1, v2
	s_waitcnt vmcnt(1)
	ds_write_b32 v1, v35
	v_mul_lo_u32 v1, v29, s6
	v_lshlrev_b32_e32 v2, 2, v28
	v_add3_u32 v1, 0, v1, v2
	v_or_b32_e32 v2, 0xffffff80, v17
	s_waitcnt vmcnt(0)
	ds_write_b32 v1, v32
	v_lshrrev_b16_e32 v1, 1, v2
	v_and_b32_e32 v1, 0x7f, v1
	v_mul_lo_u16_e32 v1, 0xb3, v1
	v_lshrrev_b16_e32 v3, 12, v1
	v_add_u32_e32 v1, v29, v3
	v_mul_lo_u16_e32 v3, 46, v3
	v_sub_u16_e32 v2, v2, v3
	v_and_b32_e32 v2, 0xff, v2
	v_cmp_gt_u32_e32 vcc, s7, v1
	s_and_saveexec_b64 s[4:5], vcc
	s_cbranch_execz .LBB19_2
; %bb.1:
	v_mad_u64_u32 v[4:5], s[8:9], v1, s3, v[2:3]
	v_ashrrev_i32_e32 v5, 31, v4
	v_lshl_add_u64 v[4:5], v[4:5], 2, s[16:17]
	global_load_dword v3, v[4:5], off
	v_mul_lo_u32 v4, v1, s6
	v_lshlrev_b32_e32 v5, 2, v2
	v_add3_u32 v4, 0, v4, v5
	s_waitcnt vmcnt(0)
	ds_write_b32 v4, v3
.LBB19_2:
	s_or_b64 exec, exec, s[4:5]
	v_or_b32_e32 v2, 0xffffff80, v2
	v_lshrrev_b16_e32 v3, 1, v2
	v_and_b32_e32 v3, 0x7f, v3
	v_mul_lo_u16_e32 v3, 0xb3, v3
	v_lshrrev_b16_e32 v3, 12, v3
	v_add_u32_e32 v1, v1, v3
	v_mul_lo_u16_e32 v3, 46, v3
	v_sub_u16_e32 v2, v2, v3
	v_and_b32_e32 v2, 0xff, v2
	v_cmp_gt_u32_e32 vcc, s7, v1
	s_and_saveexec_b64 s[4:5], vcc
	s_cbranch_execz .LBB19_4
; %bb.3:
	v_mad_u64_u32 v[4:5], s[6:7], v1, s3, v[2:3]
	v_ashrrev_i32_e32 v5, 31, v4
	v_lshl_add_u64 v[4:5], v[4:5], 2, s[16:17]
	global_load_dword v3, v[4:5], off
	s_movk_i32 s6, 0xb8
	v_mul_lo_u32 v4, v1, s6
	v_lshlrev_b32_e32 v5, 2, v2
	v_add3_u32 v4, 0, v4, v5
	s_waitcnt vmcnt(0)
	ds_write_b32 v4, v3
.LBB19_4:
	s_or_b64 exec, exec, s[4:5]
	v_or_b32_e32 v2, 0xffffff80, v2
	v_lshrrev_b16_e32 v3, 1, v2
	v_and_b32_e32 v3, 0x7f, v3
	v_mul_lo_u16_e32 v3, 0xb3, v3
	v_lshrrev_b16_e32 v3, 12, v3
	v_add_u32_e32 v1, v1, v3
	v_mul_lo_u16_e32 v3, 46, v3
	v_sub_u16_e32 v2, v2, v3
	s_movk_i32 s6, 0x80
	v_and_b32_e32 v2, 0xff, v2
	v_cmp_gt_u32_e32 vcc, s6, v1
	s_and_saveexec_b64 s[4:5], vcc
	s_cbranch_execz .LBB19_6
; %bb.5:
	v_mad_u64_u32 v[4:5], s[8:9], v1, s3, v[2:3]
	v_ashrrev_i32_e32 v5, 31, v4
	v_lshl_add_u64 v[4:5], v[4:5], 2, s[16:17]
	global_load_dword v3, v[4:5], off
	s_movk_i32 s7, 0xb8
	v_mul_lo_u32 v4, v1, s7
	v_lshlrev_b32_e32 v5, 2, v2
	v_add3_u32 v4, 0, v4, v5
	s_waitcnt vmcnt(0)
	ds_write_b32 v4, v3
.LBB19_6:
	s_or_b64 exec, exec, s[4:5]
	v_or_b32_e32 v2, 0xffffff80, v2
	v_lshrrev_b16_e32 v3, 1, v2
	v_and_b32_e32 v3, 0x7f, v3
	v_mul_lo_u16_e32 v3, 0xb3, v3
	v_lshrrev_b16_e32 v3, 12, v3
	v_add_u32_e32 v1, v1, v3
	v_mul_lo_u16_e32 v3, 46, v3
	v_sub_u16_e32 v2, v2, v3
	v_and_b32_e32 v2, 0xff, v2
	v_cmp_gt_u32_e32 vcc, s6, v1
	s_and_saveexec_b64 s[4:5], vcc
	s_cbranch_execz .LBB19_8
; %bb.7:
	v_mad_u64_u32 v[4:5], s[6:7], v1, s3, v[2:3]
	v_ashrrev_i32_e32 v5, 31, v4
	v_lshl_add_u64 v[4:5], v[4:5], 2, s[16:17]
	global_load_dword v3, v[4:5], off
	s_movk_i32 s6, 0xb8
	v_mul_lo_u32 v4, v1, s6
	v_lshlrev_b32_e32 v5, 2, v2
	v_add3_u32 v4, 0, v4, v5
	s_waitcnt vmcnt(0)
	ds_write_b32 v4, v3
.LBB19_8:
	s_or_b64 exec, exec, s[4:5]
	v_or_b32_e32 v2, 0xffffff80, v2
	v_lshrrev_b16_e32 v3, 1, v2
	v_and_b32_e32 v3, 0x7f, v3
	v_mul_lo_u16_e32 v3, 0xb3, v3
	v_lshrrev_b16_e32 v3, 12, v3
	v_add_u32_e32 v1, v1, v3
	v_mul_lo_u16_e32 v3, 46, v3
	v_sub_u16_e32 v2, v2, v3
	s_movk_i32 s6, 0x80
	v_and_b32_e32 v2, 0xff, v2
	v_cmp_gt_u32_e32 vcc, s6, v1
	s_and_saveexec_b64 s[4:5], vcc
	s_cbranch_execz .LBB19_10
; %bb.9:
	v_mad_u64_u32 v[4:5], s[8:9], v1, s3, v[2:3]
	v_ashrrev_i32_e32 v5, 31, v4
	v_lshl_add_u64 v[4:5], v[4:5], 2, s[16:17]
	global_load_dword v3, v[4:5], off
	s_movk_i32 s7, 0xb8
	v_mul_lo_u32 v4, v1, s7
	v_lshlrev_b32_e32 v5, 2, v2
	v_add3_u32 v4, 0, v4, v5
	s_waitcnt vmcnt(0)
	ds_write_b32 v4, v3
.LBB19_10:
	;; [unrolled: 51-line block ×5, first 2 shown]
	s_or_b64 exec, exec, s[4:5]
	v_or_b32_e32 v2, 0xffffff80, v2
	v_lshrrev_b16_e32 v3, 1, v2
	v_and_b32_e32 v3, 0x7f, v3
	v_mul_lo_u16_e32 v3, 0xb3, v3
	v_lshrrev_b16_e32 v3, 12, v3
	v_add_u32_e32 v1, v1, v3
	v_mul_lo_u16_e32 v3, 46, v3
	v_sub_u16_e32 v2, v2, v3
	v_and_b32_e32 v2, 0xff, v2
	v_cmp_gt_u32_e32 vcc, s6, v1
	s_and_saveexec_b64 s[4:5], vcc
	s_cbranch_execz .LBB19_24
; %bb.23:
	v_mad_u64_u32 v[4:5], s[6:7], v1, s3, v[2:3]
	v_ashrrev_i32_e32 v5, 31, v4
	v_lshl_add_u64 v[4:5], v[4:5], 2, s[16:17]
	global_load_dword v3, v[4:5], off
	s_movk_i32 s6, 0xb8
	v_mul_lo_u32 v4, v1, s6
	v_lshlrev_b32_e32 v5, 2, v2
	v_add3_u32 v4, 0, v4, v5
	s_waitcnt vmcnt(0)
	ds_write_b32 v4, v3
.LBB19_24:
	s_or_b64 exec, exec, s[4:5]
	s_load_dwordx4 s[4:7], s[0:1], 0x8
	s_load_dwordx2 s[8:9], s[0:1], 0x28
	s_movk_i32 s10, 0x380
	v_cmp_gt_u32_e32 vcc, s10, v0
	s_and_saveexec_b64 s[18:19], vcc
	s_cbranch_execz .LBB19_45
; %bb.25:
	v_or_b32_e32 v2, 0xffffff80, v2
	v_lshrrev_b16_e32 v3, 1, v2
	v_and_b32_e32 v3, 0x7f, v3
	v_mul_lo_u16_e32 v3, 0xb3, v3
	v_lshrrev_b16_e32 v3, 12, v3
	v_add_u32_e32 v1, v1, v3
	v_mul_lo_u16_e32 v3, 46, v3
	v_sub_u16_e32 v2, v2, v3
	s_movk_i32 s10, 0x80
	v_and_b32_e32 v2, 0xff, v2
	v_cmp_gt_u32_e32 vcc, s10, v1
	s_and_saveexec_b64 s[20:21], vcc
	s_cbranch_execz .LBB19_27
; %bb.26:
	v_mad_u64_u32 v[4:5], s[22:23], v1, s3, v[2:3]
	v_ashrrev_i32_e32 v5, 31, v4
	v_lshl_add_u64 v[4:5], v[4:5], 2, s[16:17]
	global_load_dword v3, v[4:5], off
	s_movk_i32 s10, 0xb8
	v_mul_lo_u32 v4, v1, s10
	v_lshlrev_b32_e32 v5, 2, v2
	v_add3_u32 v4, 0, v4, v5
	s_waitcnt vmcnt(0)
	ds_write_b32 v4, v3
.LBB19_27:
	s_or_b64 exec, exec, s[20:21]
	s_movk_i32 s10, 0x300
	v_cmp_gt_u32_e32 vcc, s10, v0
	s_and_b64 exec, exec, vcc
	s_cbranch_execz .LBB19_45
; %bb.28:
	v_or_b32_e32 v2, 0xffffff80, v2
	v_lshrrev_b16_e32 v3, 1, v2
	v_and_b32_e32 v3, 0x7f, v3
	v_mul_lo_u16_e32 v3, 0xb3, v3
	v_lshrrev_b16_e32 v3, 12, v3
	v_add_u32_e32 v1, v1, v3
	v_mul_lo_u16_e32 v3, 46, v3
	v_sub_u16_e32 v2, v2, v3
	s_movk_i32 s10, 0x80
	v_and_b32_e32 v2, 0xff, v2
	v_cmp_gt_u32_e32 vcc, s10, v1
	s_and_saveexec_b64 s[20:21], vcc
	s_cbranch_execz .LBB19_30
; %bb.29:
	v_mad_u64_u32 v[4:5], s[22:23], v1, s3, v[2:3]
	v_ashrrev_i32_e32 v5, 31, v4
	v_lshl_add_u64 v[4:5], v[4:5], 2, s[16:17]
	global_load_dword v3, v[4:5], off
	s_movk_i32 s10, 0xb8
	v_mul_lo_u32 v4, v1, s10
	v_lshlrev_b32_e32 v5, 2, v2
	v_add3_u32 v4, 0, v4, v5
	s_waitcnt vmcnt(0)
	ds_write_b32 v4, v3
.LBB19_30:
	s_or_b64 exec, exec, s[20:21]
	s_movk_i32 s10, 0x280
	v_cmp_gt_u32_e32 vcc, s10, v0
	s_and_b64 exec, exec, vcc
	;; [unrolled: 31-line block ×5, first 2 shown]
	s_cbranch_execz .LBB19_45
; %bb.40:
	v_or_b32_e32 v2, 0xffffff80, v2
	v_lshrrev_b16_e32 v3, 1, v2
	v_and_b32_e32 v3, 0x7f, v3
	v_mul_lo_u16_e32 v3, 0xb3, v3
	v_lshrrev_b16_e32 v3, 12, v3
	v_add_u32_e32 v1, v1, v3
	v_mul_lo_u16_e32 v3, 46, v3
	v_sub_u16_e32 v2, v2, v3
	s_movk_i32 s10, 0x80
	v_and_b32_e32 v2, 0xff, v2
	v_cmp_gt_u32_e32 vcc, s10, v1
	s_and_saveexec_b64 s[20:21], vcc
	s_cbranch_execz .LBB19_42
; %bb.41:
	v_mad_u64_u32 v[4:5], s[22:23], v1, s3, v[2:3]
	v_ashrrev_i32_e32 v5, 31, v4
	v_lshl_add_u64 v[4:5], v[4:5], 2, s[16:17]
	global_load_dword v3, v[4:5], off
	s_movk_i32 s22, 0xb8
	v_mul_lo_u32 v4, v1, s22
	v_lshlrev_b32_e32 v5, 2, v2
	v_add3_u32 v4, 0, v4, v5
	s_waitcnt vmcnt(0)
	ds_write_b32 v4, v3
.LBB19_42:
	s_or_b64 exec, exec, s[20:21]
	v_cmp_gt_u32_e32 vcc, s10, v0
	s_and_b64 exec, exec, vcc
	s_cbranch_execz .LBB19_45
; %bb.43:
	v_or_b32_e32 v2, 0x80, v2
	v_lshrrev_b16_e32 v3, 1, v2
	v_mul_lo_u16_e32 v3, 0xb3, v3
	v_lshrrev_b16_e32 v3, 12, v3
	v_add_u32_e32 v1, v1, v3
	v_cmp_gt_u32_e32 vcc, s10, v1
	s_and_b64 exec, exec, vcc
	s_cbranch_execz .LBB19_45
; %bb.44:
	v_mul_lo_u16_e32 v3, 46, v3
	v_sub_u16_e32 v2, v2, v3
	v_and_b32_e32 v2, 0xff, v2
	v_mad_u64_u32 v[4:5], s[20:21], v1, s3, v[2:3]
	v_ashrrev_i32_e32 v5, 31, v4
	v_lshl_add_u64 v[4:5], v[4:5], 2, s[16:17]
	global_load_dword v3, v[4:5], off
	s_movk_i32 s3, 0xb8
	v_mul_lo_u32 v1, v1, s3
	v_lshlrev_b32_e32 v2, 2, v2
	v_add3_u32 v1, 0, v1, v2
	s_waitcnt vmcnt(0)
	ds_write_b32 v1, v3
.LBB19_45:
	s_or_b64 exec, exec, s[18:19]
	s_ashr_i32 s3, s11, 31
	s_mul_hi_u32 s10, s12, s11
	s_mul_i32 s3, s12, s3
	s_add_i32 s3, s10, s3
	s_mul_i32 s10, s13, s11
	s_add_i32 s3, s3, s10
	s_mul_i32 s10, s12, s11
	s_waitcnt lgkmcnt(0)
	s_add_u32 s4, s4, s10
	s_addc_u32 s5, s5, s3
	s_ashr_i32 s3, s11, 2
	v_mul_lo_u32 v2, s3, v0
	v_ashrrev_i32_e32 v3, 31, v2
	v_lshl_add_u64 v[18:19], v[2:3], 2, s[4:5]
	s_barrier
	global_load_dwordx3 v[14:16], v[18:19], off offset:48
	global_load_dwordx4 v[6:9], v[18:19], off offset:32
	global_load_dwordx4 v[10:13], v[18:19], off offset:16
	global_load_dwordx4 v[2:5], v[18:19], off
	s_cmp_eq_u64 s[6:7], 0
	v_lshlrev_b32_e32 v30, 2, v0
	s_waitcnt vmcnt(3)
	v_mov_b32_e32 v17, v16
	s_cbranch_scc1 .LBB19_47
; %bb.46:
	s_lshl_b64 s[4:5], s[12:13], 2
	s_add_u32 s4, s6, s4
	s_addc_u32 s5, s7, s5
	global_load_dword v18, v30, s[4:5]
	s_branch .LBB19_48
.LBB19_47:
	v_mov_b32_e32 v18, 0
.LBB19_48:
	s_load_dwordx2 s[4:5], s[0:1], 0x40
	s_waitcnt lgkmcnt(0)
	s_sub_u32 s6, s4, s14
	s_subb_u32 s7, s5, s15
	v_cmp_lt_i64_e64 s[4:5], s[6:7], 1
	s_and_b64 vcc, exec, s[4:5]
	s_cbranch_vccnz .LBB19_56
; %bb.49:
	s_load_dwordx4 s[16:19], s[0:1], 0x30
	v_cmp_lt_u64_e64 s[4:5], s[6:7], 32
	s_waitcnt vmcnt(0)
	v_mov_b32_e32 v20, v5
	v_mov_b32_e32 v21, v10
	v_mov_b32_e32 v22, v11
	s_waitcnt lgkmcnt(0)
	s_ashr_i32 s0, s17, 31
	s_mul_hi_u32 s1, s14, s17
	s_mul_i32 s0, s14, s0
	s_add_i32 s0, s1, s0
	s_mul_i32 s1, s15, s17
	s_add_i32 s15, s0, s1
	s_ashr_i32 s0, s16, 31
	s_mul_hi_u32 s1, s12, s16
	s_mul_i32 s0, s12, s0
	s_mul_i32 s10, s18, s2
	s_add_i32 s0, s1, s0
	s_mul_i32 s1, s13, s16
	s_ashr_i32 s11, s10, 31
	s_add_i32 s13, s0, s1
	s_ashr_i32 s0, s17, 2
	s_and_b64 s[4:5], s[4:5], exec
	s_cselect_b32 s5, s7, 0
	s_cselect_b32 s4, s6, 32
	s_cmp_eq_u64 s[6:7], 1
	s_cselect_b64 s[6:7], -1, 0
	s_cmp_lg_u32 s0, 1
	s_mul_i32 s14, s14, s17
	s_mul_i32 s12, s12, s16
	s_cselect_b64 s[16:17], -1, 0
	s_or_b64 s[6:7], s[6:7], s[16:17]
	v_mov_b32_e32 v23, v12
	v_mov_b32_e32 v24, v13
	;; [unrolled: 1-line block ×8, first 2 shown]
	v_mul_u32_u24_e32 v54, 0xb8, v0
	v_mov_b32_e32 v31, 0
	s_mov_b32 s3, 0
	s_and_b64 vcc, exec, s[6:7]
	s_cbranch_vccnz .LBB19_53
; %bb.50:
	s_add_u32 s1, s8, s10
	s_addc_u32 s2, s9, s11
	v_add_u32_e32 v55, 0, v54
	s_add_u32 s1, s1, s14
	ds_read2_b32 v[52:53], v55 offset1:1
	s_addc_u32 s2, s2, s15
	s_add_u32 s6, s1, s12
	s_addc_u32 s7, s2, s13
	s_and_b32 s2, s4, 62
	v_lshl_add_u64 v[0:1], s[6:7], 0, v[30:31]
	v_mov_b32_e32 v32, v2
	v_mov_b32_e32 v33, v2
	;; [unrolled: 1-line block ×26, first 2 shown]
	s_mov_b64 s[6:7], s[2:3]
.LBB19_51:                              ; =>This Inner Loop Header: Depth=1
	ds_read2_b32 v[56:57], v55 offset0:1 offset1:2
	ds_read2_b32 v[58:59], v55 offset0:3 offset1:4
	s_waitcnt lgkmcnt(2)
	v_pk_fma_f32 v[52:53], v[32:33], v[52:53], 0 op_sel_hi:[1,1,0]
	s_add_u32 s6, s6, -2
	v_add_u32_e32 v5, 8, v55
	s_waitcnt lgkmcnt(1)
	v_pk_fma_f32 v[56:57], v[34:35], v[56:57], v[52:53]
	ds_read2_b32 v[52:53], v55 offset0:2 offset1:3
	s_addc_u32 s7, s7, -1
	s_cmp_lg_u64 s[6:7], 0
	s_waitcnt lgkmcnt(0)
	v_pk_fma_f32 v[56:57], v[36:37], v[52:53], v[56:57]
	s_nop 0
	v_pk_fma_f32 v[56:57], v[38:39], v[58:59], v[56:57]
	ds_read2_b32 v[58:59], v55 offset0:4 offset1:5
	s_waitcnt lgkmcnt(0)
	v_pk_fma_f32 v[56:57], v[40:41], v[58:59], v[56:57]
	ds_read2_b32 v[58:59], v55 offset0:5 offset1:6
	s_waitcnt lgkmcnt(0)
	v_pk_fma_f32 v[56:57], v[10:11], v[58:59], v[56:57]
	ds_read2_b32 v[58:59], v55 offset0:6 offset1:7
	s_waitcnt lgkmcnt(0)
	v_pk_fma_f32 v[56:57], v[42:43], v[58:59], v[56:57]
	ds_read2_b32 v[58:59], v55 offset0:7 offset1:8
	s_waitcnt lgkmcnt(0)
	v_pk_fma_f32 v[56:57], v[12:13], v[58:59], v[56:57]
	ds_read2_b32 v[58:59], v55 offset0:8 offset1:9
	s_waitcnt lgkmcnt(0)
	v_pk_fma_f32 v[56:57], v[44:45], v[58:59], v[56:57]
	ds_read2_b32 v[58:59], v55 offset0:9 offset1:10
	s_waitcnt lgkmcnt(0)
	v_pk_fma_f32 v[56:57], v[6:7], v[58:59], v[56:57]
	ds_read2_b32 v[58:59], v55 offset0:10 offset1:11
	s_waitcnt lgkmcnt(0)
	v_pk_fma_f32 v[56:57], v[46:47], v[58:59], v[56:57]
	ds_read2_b32 v[58:59], v55 offset0:11 offset1:12
	s_waitcnt lgkmcnt(0)
	v_pk_fma_f32 v[56:57], v[8:9], v[58:59], v[56:57]
	ds_read2_b32 v[58:59], v55 offset0:12 offset1:13
	s_waitcnt lgkmcnt(0)
	v_pk_fma_f32 v[56:57], v[48:49], v[58:59], v[56:57]
	ds_read2_b32 v[58:59], v55 offset0:13 offset1:14
	s_waitcnt lgkmcnt(0)
	v_pk_fma_f32 v[56:57], v[14:15], v[58:59], v[56:57]
	ds_read2_b32 v[58:59], v55 offset0:14 offset1:15
	v_mov_b32_e32 v55, v5
	s_waitcnt lgkmcnt(0)
	v_pk_fma_f32 v[56:57], v[50:51], v[58:59], v[56:57]
	s_nop 0
	v_pk_add_f32 v[56:57], v[18:19], v[56:57]
	global_store_dwordx2 v[0:1], v[56:57], off
	v_lshl_add_u64 v[0:1], v[0:1], 0, 8
	s_cbranch_scc1 .LBB19_51
; %bb.52:
	s_cmp_lg_u64 s[4:5], s[2:3]
	s_cselect_b64 s[6:7], -1, 0
	s_and_b64 vcc, exec, s[6:7]
	s_cbranch_vccnz .LBB19_54
	s_branch .LBB19_56
.LBB19_53:
	s_mov_b64 s[2:3], 0
	s_cbranch_execz .LBB19_56
.LBB19_54:
	s_ashr_i32 s1, s0, 31
	s_sub_u32 s4, s4, s2
	s_subb_u32 s5, s5, s3
	s_add_u32 s3, s12, s14
	s_mul_hi_i32 s7, s2, s0
	s_mul_i32 s6, s2, s0
	s_addc_u32 s12, s13, s15
	s_lshl_b64 s[6:7], s[6:7], 2
	s_add_u32 s3, s3, s6
	s_addc_u32 s7, s12, s7
	s_add_u32 s6, s8, s10
	s_addc_u32 s8, s9, s11
	;; [unrolled: 2-line block ×3, first 2 shown]
	s_lshl_b32 s2, s2, 2
	s_add_i32 s2, s2, 0
	v_add_u32_e32 v5, s2, v54
	ds_read_b32 v0, v5
	v_mov_b32_e32 v31, 0
	v_lshl_add_u64 v[6:7], s[6:7], 0, v[30:31]
	s_lshl_b64 s[0:1], s[0:1], 2
.LBB19_55:                              ; =>This Inner Loop Header: Depth=1
	s_waitcnt lgkmcnt(0)
	v_fma_f32 v19, v2, v0, 0
	ds_read2_b32 v[0:1], v5 offset0:1 offset1:2
	ds_read2_b32 v[8:9], v5 offset0:3 offset1:4
	;; [unrolled: 1-line block ×7, first 2 shown]
	s_waitcnt lgkmcnt(6)
	v_fmac_f32_e32 v19, v3, v0
	s_waitcnt lgkmcnt(5)
	v_pk_mul_f32 v[8:9], v[20:21], v[8:9]
	v_fmac_f32_e32 v19, v4, v1
	v_add_f32_e32 v1, v19, v8
	s_waitcnt lgkmcnt(4)
	v_pk_mul_f32 v[10:11], v[22:23], v[10:11]
	v_add_f32_e32 v1, v1, v9
	v_add_f32_e32 v1, v1, v10
	s_waitcnt lgkmcnt(3)
	v_pk_mul_f32 v[12:13], v[24:25], v[12:13]
	v_add_f32_e32 v1, v1, v11
	;; [unrolled: 4-line block ×5, first 2 shown]
	v_add_f32_e32 v1, v1, v32
	s_add_u32 s4, s4, -1
	v_add_f32_e32 v1, v1, v33
	v_add_u32_e32 v34, 4, v5
	s_addc_u32 s5, s5, -1
	v_add_f32_e32 v1, v18, v1
	v_mov_b32_e32 v5, v34
	s_cmp_lg_u64 s[4:5], 0
	global_store_dword v[6:7], v1, off
	v_lshl_add_u64 v[6:7], v[6:7], 0, s[0:1]
	s_cbranch_scc1 .LBB19_55
.LBB19_56:
	s_endpgm
	.section	.rodata,"a",@progbits
	.p2align	6, 0x0
	.amdhsa_kernel _ZL23ssm_conv_long_token_f32ILb0ELm128ELm15ELl32EEvPKfS1_S1_iiiiPfiiil
		.amdhsa_group_segment_fixed_size 0
		.amdhsa_private_segment_fixed_size 0
		.amdhsa_kernarg_size 72
		.amdhsa_user_sgpr_count 2
		.amdhsa_user_sgpr_dispatch_ptr 0
		.amdhsa_user_sgpr_queue_ptr 0
		.amdhsa_user_sgpr_kernarg_segment_ptr 1
		.amdhsa_user_sgpr_dispatch_id 0
		.amdhsa_user_sgpr_kernarg_preload_length 0
		.amdhsa_user_sgpr_kernarg_preload_offset 0
		.amdhsa_user_sgpr_private_segment_size 0
		.amdhsa_uses_dynamic_stack 0
		.amdhsa_enable_private_segment 0
		.amdhsa_system_sgpr_workgroup_id_x 1
		.amdhsa_system_sgpr_workgroup_id_y 1
		.amdhsa_system_sgpr_workgroup_id_z 1
		.amdhsa_system_sgpr_workgroup_info 0
		.amdhsa_system_vgpr_workitem_id 0
		.amdhsa_next_free_vgpr 60
		.amdhsa_next_free_sgpr 24
		.amdhsa_accum_offset 60
		.amdhsa_reserve_vcc 1
		.amdhsa_float_round_mode_32 0
		.amdhsa_float_round_mode_16_64 0
		.amdhsa_float_denorm_mode_32 3
		.amdhsa_float_denorm_mode_16_64 3
		.amdhsa_dx10_clamp 1
		.amdhsa_ieee_mode 1
		.amdhsa_fp16_overflow 0
		.amdhsa_tg_split 0
		.amdhsa_exception_fp_ieee_invalid_op 0
		.amdhsa_exception_fp_denorm_src 0
		.amdhsa_exception_fp_ieee_div_zero 0
		.amdhsa_exception_fp_ieee_overflow 0
		.amdhsa_exception_fp_ieee_underflow 0
		.amdhsa_exception_fp_ieee_inexact 0
		.amdhsa_exception_int_div_zero 0
	.end_amdhsa_kernel
	.section	.text._ZL23ssm_conv_long_token_f32ILb0ELm128ELm15ELl32EEvPKfS1_S1_iiiiPfiiil,"axG",@progbits,_ZL23ssm_conv_long_token_f32ILb0ELm128ELm15ELl32EEvPKfS1_S1_iiiiPfiiil,comdat
.Lfunc_end19:
	.size	_ZL23ssm_conv_long_token_f32ILb0ELm128ELm15ELl32EEvPKfS1_S1_iiiiPfiiil, .Lfunc_end19-_ZL23ssm_conv_long_token_f32ILb0ELm128ELm15ELl32EEvPKfS1_S1_iiiiPfiiil
                                        ; -- End function
	.set _ZL23ssm_conv_long_token_f32ILb0ELm128ELm15ELl32EEvPKfS1_S1_iiiiPfiiil.num_vgpr, 60
	.set _ZL23ssm_conv_long_token_f32ILb0ELm128ELm15ELl32EEvPKfS1_S1_iiiiPfiiil.num_agpr, 0
	.set _ZL23ssm_conv_long_token_f32ILb0ELm128ELm15ELl32EEvPKfS1_S1_iiiiPfiiil.numbered_sgpr, 24
	.set _ZL23ssm_conv_long_token_f32ILb0ELm128ELm15ELl32EEvPKfS1_S1_iiiiPfiiil.num_named_barrier, 0
	.set _ZL23ssm_conv_long_token_f32ILb0ELm128ELm15ELl32EEvPKfS1_S1_iiiiPfiiil.private_seg_size, 0
	.set _ZL23ssm_conv_long_token_f32ILb0ELm128ELm15ELl32EEvPKfS1_S1_iiiiPfiiil.uses_vcc, 1
	.set _ZL23ssm_conv_long_token_f32ILb0ELm128ELm15ELl32EEvPKfS1_S1_iiiiPfiiil.uses_flat_scratch, 0
	.set _ZL23ssm_conv_long_token_f32ILb0ELm128ELm15ELl32EEvPKfS1_S1_iiiiPfiiil.has_dyn_sized_stack, 0
	.set _ZL23ssm_conv_long_token_f32ILb0ELm128ELm15ELl32EEvPKfS1_S1_iiiiPfiiil.has_recursion, 0
	.set _ZL23ssm_conv_long_token_f32ILb0ELm128ELm15ELl32EEvPKfS1_S1_iiiiPfiiil.has_indirect_call, 0
	.section	.AMDGPU.csdata,"",@progbits
; Kernel info:
; codeLenInByte = 7024
; TotalNumSgprs: 30
; NumVgprs: 60
; NumAgprs: 0
; TotalNumVgprs: 60
; ScratchSize: 0
; MemoryBound: 0
; FloatMode: 240
; IeeeMode: 1
; LDSByteSize: 0 bytes/workgroup (compile time only)
; SGPRBlocks: 3
; VGPRBlocks: 7
; NumSGPRsForWavesPerEU: 30
; NumVGPRsForWavesPerEU: 60
; AccumOffset: 60
; Occupancy: 8
; WaveLimiterHint : 0
; COMPUTE_PGM_RSRC2:SCRATCH_EN: 0
; COMPUTE_PGM_RSRC2:USER_SGPR: 2
; COMPUTE_PGM_RSRC2:TRAP_HANDLER: 0
; COMPUTE_PGM_RSRC2:TGID_X_EN: 1
; COMPUTE_PGM_RSRC2:TGID_Y_EN: 1
; COMPUTE_PGM_RSRC2:TGID_Z_EN: 1
; COMPUTE_PGM_RSRC2:TIDIG_COMP_CNT: 0
; COMPUTE_PGM_RSRC3_GFX90A:ACCUM_OFFSET: 14
; COMPUTE_PGM_RSRC3_GFX90A:TG_SPLIT: 0
	.section	.AMDGPU.gpr_maximums,"",@progbits
	.set amdgpu.max_num_vgpr, 0
	.set amdgpu.max_num_agpr, 0
	.set amdgpu.max_num_sgpr, 0
	.section	.AMDGPU.csdata,"",@progbits
	.type	__hip_cuid_3a1efe182f7973f,@object ; @__hip_cuid_3a1efe182f7973f
	.section	.bss,"aw",@nobits
	.globl	__hip_cuid_3a1efe182f7973f
__hip_cuid_3a1efe182f7973f:
	.byte	0                               ; 0x0
	.size	__hip_cuid_3a1efe182f7973f, 1

	.ident	"AMD clang version 22.0.0git (https://github.com/RadeonOpenCompute/llvm-project roc-7.2.4 26084 f58b06dce1f9c15707c5f808fd002e18c2accf7e)"
	.section	".note.GNU-stack","",@progbits
	.addrsig
	.addrsig_sym __hip_cuid_3a1efe182f7973f
	.amdgpu_metadata
---
amdhsa.kernels:
  - .agpr_count:     0
    .args:
      - .address_space:  global
        .offset:         0
        .size:           8
        .value_kind:     global_buffer
      - .address_space:  global
        .offset:         8
        .size:           8
        .value_kind:     global_buffer
      - .address_space:  global
        .offset:         16
        .size:           8
        .value_kind:     global_buffer
      - .offset:         24
        .size:           4
        .value_kind:     by_value
      - .offset:         28
        .size:           4
        .value_kind:     by_value
      - .offset:         32
        .size:           4
        .value_kind:     by_value
      - .offset:         36
        .size:           4
        .value_kind:     by_value
      - .address_space:  global
        .offset:         40
        .size:           8
        .value_kind:     global_buffer
      - .offset:         48
        .size:           4
        .value_kind:     by_value
      - .offset:         52
        .size:           4
        .value_kind:     by_value
      - .offset:         56
        .size:           4
        .value_kind:     by_value
      - .offset:         64
        .size:           8
        .value_kind:     by_value
    .group_segment_fixed_size: 0
    .kernarg_segment_align: 8
    .kernarg_segment_size: 72
    .language:       OpenCL C
    .language_version:
      - 2
      - 0
    .max_flat_workgroup_size: 1024
    .name:           _ZL12ssm_conv_f32ILb1ELm128ELm3EEvPKfS1_S1_iiiiPfiiil
    .private_segment_fixed_size: 0
    .sgpr_count:     50
    .sgpr_spill_count: 0
    .symbol:         _ZL12ssm_conv_f32ILb1ELm128ELm3EEvPKfS1_S1_iiiiPfiiil.kd
    .uniform_work_group_size: 1
    .uses_dynamic_stack: false
    .vgpr_count:     19
    .vgpr_spill_count: 0
    .wavefront_size: 64
  - .agpr_count:     0
    .args:
      - .actual_access:  read_only
        .address_space:  global
        .offset:         0
        .size:           8
        .value_kind:     global_buffer
      - .actual_access:  read_only
        .address_space:  global
        .offset:         8
        .size:           8
        .value_kind:     global_buffer
      - .actual_access:  read_only
        .address_space:  global
        .offset:         16
        .size:           8
        .value_kind:     global_buffer
      - .offset:         24
        .size:           4
        .value_kind:     by_value
      - .offset:         28
        .size:           4
        .value_kind:     by_value
      - .offset:         32
        .size:           4
        .value_kind:     by_value
      - .offset:         36
        .size:           4
        .value_kind:     by_value
      - .actual_access:  write_only
        .address_space:  global
        .offset:         40
        .size:           8
        .value_kind:     global_buffer
      - .offset:         48
        .size:           4
        .value_kind:     by_value
      - .offset:         52
        .size:           4
        .value_kind:     by_value
      - .offset:         56
        .size:           4
        .value_kind:     by_value
      - .offset:         64
        .size:           8
        .value_kind:     by_value
    .group_segment_fixed_size: 0
    .kernarg_segment_align: 8
    .kernarg_segment_size: 72
    .language:       OpenCL C
    .language_version:
      - 2
      - 0
    .max_flat_workgroup_size: 1024
    .name:           _ZL23ssm_conv_long_token_f32ILb1ELm128ELm3ELl32EEvPKfS1_S1_iiiiPfiiil
    .private_segment_fixed_size: 0
    .sgpr_count:     30
    .sgpr_spill_count: 0
    .symbol:         _ZL23ssm_conv_long_token_f32ILb1ELm128ELm3ELl32EEvPKfS1_S1_iiiiPfiiil.kd
    .uniform_work_group_size: 1
    .uses_dynamic_stack: false
    .vgpr_count:     50
    .vgpr_spill_count: 0
    .wavefront_size: 64
  - .agpr_count:     0
    .args:
      - .address_space:  global
        .offset:         0
        .size:           8
        .value_kind:     global_buffer
      - .address_space:  global
        .offset:         8
        .size:           8
        .value_kind:     global_buffer
      - .address_space:  global
        .offset:         16
        .size:           8
        .value_kind:     global_buffer
      - .offset:         24
        .size:           4
        .value_kind:     by_value
      - .offset:         28
        .size:           4
        .value_kind:     by_value
      - .offset:         32
        .size:           4
        .value_kind:     by_value
      - .offset:         36
        .size:           4
        .value_kind:     by_value
      - .address_space:  global
        .offset:         40
        .size:           8
        .value_kind:     global_buffer
      - .offset:         48
        .size:           4
        .value_kind:     by_value
      - .offset:         52
        .size:           4
        .value_kind:     by_value
      - .offset:         56
        .size:           4
        .value_kind:     by_value
      - .offset:         64
        .size:           8
        .value_kind:     by_value
    .group_segment_fixed_size: 0
    .kernarg_segment_align: 8
    .kernarg_segment_size: 72
    .language:       OpenCL C
    .language_version:
      - 2
      - 0
    .max_flat_workgroup_size: 1024
    .name:           _ZL12ssm_conv_f32ILb1ELm128ELm4EEvPKfS1_S1_iiiiPfiiil
    .private_segment_fixed_size: 0
    .sgpr_count:     30
    .sgpr_spill_count: 0
    .symbol:         _ZL12ssm_conv_f32ILb1ELm128ELm4EEvPKfS1_S1_iiiiPfiiil.kd
    .uniform_work_group_size: 1
    .uses_dynamic_stack: false
    .vgpr_count:     21
    .vgpr_spill_count: 0
    .wavefront_size: 64
  - .agpr_count:     0
    .args:
      - .actual_access:  read_only
        .address_space:  global
        .offset:         0
        .size:           8
        .value_kind:     global_buffer
      - .actual_access:  read_only
        .address_space:  global
        .offset:         8
        .size:           8
        .value_kind:     global_buffer
      - .actual_access:  read_only
        .address_space:  global
        .offset:         16
        .size:           8
        .value_kind:     global_buffer
      - .offset:         24
        .size:           4
        .value_kind:     by_value
      - .offset:         28
        .size:           4
        .value_kind:     by_value
      - .offset:         32
        .size:           4
        .value_kind:     by_value
      - .offset:         36
        .size:           4
        .value_kind:     by_value
      - .actual_access:  write_only
        .address_space:  global
        .offset:         40
        .size:           8
        .value_kind:     global_buffer
      - .offset:         48
        .size:           4
        .value_kind:     by_value
      - .offset:         52
        .size:           4
        .value_kind:     by_value
      - .offset:         56
        .size:           4
        .value_kind:     by_value
      - .offset:         64
        .size:           8
        .value_kind:     by_value
    .group_segment_fixed_size: 0
    .kernarg_segment_align: 8
    .kernarg_segment_size: 72
    .language:       OpenCL C
    .language_version:
      - 2
      - 0
    .max_flat_workgroup_size: 1024
    .name:           _ZL23ssm_conv_long_token_f32ILb1ELm128ELm4ELl32EEvPKfS1_S1_iiiiPfiiil
    .private_segment_fixed_size: 0
    .sgpr_count:     30
    .sgpr_spill_count: 0
    .symbol:         _ZL23ssm_conv_long_token_f32ILb1ELm128ELm4ELl32EEvPKfS1_S1_iiiiPfiiil.kd
    .uniform_work_group_size: 1
    .uses_dynamic_stack: false
    .vgpr_count:     50
    .vgpr_spill_count: 0
    .wavefront_size: 64
  - .agpr_count:     0
    .args:
      - .address_space:  global
        .offset:         0
        .size:           8
        .value_kind:     global_buffer
      - .address_space:  global
        .offset:         8
        .size:           8
        .value_kind:     global_buffer
      - .address_space:  global
        .offset:         16
        .size:           8
        .value_kind:     global_buffer
      - .offset:         24
        .size:           4
        .value_kind:     by_value
      - .offset:         28
        .size:           4
        .value_kind:     by_value
      - .offset:         32
        .size:           4
        .value_kind:     by_value
      - .offset:         36
        .size:           4
        .value_kind:     by_value
      - .address_space:  global
        .offset:         40
        .size:           8
        .value_kind:     global_buffer
      - .offset:         48
        .size:           4
        .value_kind:     by_value
      - .offset:         52
        .size:           4
        .value_kind:     by_value
      - .offset:         56
        .size:           4
        .value_kind:     by_value
      - .offset:         64
        .size:           8
        .value_kind:     by_value
    .group_segment_fixed_size: 0
    .kernarg_segment_align: 8
    .kernarg_segment_size: 72
    .language:       OpenCL C
    .language_version:
      - 2
      - 0
    .max_flat_workgroup_size: 1024
    .name:           _ZL12ssm_conv_f32ILb1ELm128ELm5EEvPKfS1_S1_iiiiPfiiil
    .private_segment_fixed_size: 0
    .sgpr_count:     69
    .sgpr_spill_count: 0
    .symbol:         _ZL12ssm_conv_f32ILb1ELm128ELm5EEvPKfS1_S1_iiiiPfiiil.kd
    .uniform_work_group_size: 1
    .uses_dynamic_stack: false
    .vgpr_count:     23
    .vgpr_spill_count: 0
    .wavefront_size: 64
  - .agpr_count:     0
    .args:
      - .actual_access:  read_only
        .address_space:  global
        .offset:         0
        .size:           8
        .value_kind:     global_buffer
      - .actual_access:  read_only
        .address_space:  global
        .offset:         8
        .size:           8
        .value_kind:     global_buffer
      - .actual_access:  read_only
        .address_space:  global
        .offset:         16
        .size:           8
        .value_kind:     global_buffer
      - .offset:         24
        .size:           4
        .value_kind:     by_value
      - .offset:         28
        .size:           4
        .value_kind:     by_value
      - .offset:         32
        .size:           4
        .value_kind:     by_value
      - .offset:         36
        .size:           4
        .value_kind:     by_value
      - .actual_access:  write_only
        .address_space:  global
        .offset:         40
        .size:           8
        .value_kind:     global_buffer
      - .offset:         48
        .size:           4
        .value_kind:     by_value
      - .offset:         52
        .size:           4
        .value_kind:     by_value
      - .offset:         56
        .size:           4
        .value_kind:     by_value
      - .offset:         64
        .size:           8
        .value_kind:     by_value
    .group_segment_fixed_size: 0
    .kernarg_segment_align: 8
    .kernarg_segment_size: 72
    .language:       OpenCL C
    .language_version:
      - 2
      - 0
    .max_flat_workgroup_size: 1024
    .name:           _ZL23ssm_conv_long_token_f32ILb1ELm128ELm5ELl32EEvPKfS1_S1_iiiiPfiiil
    .private_segment_fixed_size: 0
    .sgpr_count:     30
    .sgpr_spill_count: 0
    .symbol:         _ZL23ssm_conv_long_token_f32ILb1ELm128ELm5ELl32EEvPKfS1_S1_iiiiPfiiil.kd
    .uniform_work_group_size: 1
    .uses_dynamic_stack: false
    .vgpr_count:     50
    .vgpr_spill_count: 0
    .wavefront_size: 64
  - .agpr_count:     0
    .args:
      - .address_space:  global
        .offset:         0
        .size:           8
        .value_kind:     global_buffer
      - .address_space:  global
        .offset:         8
        .size:           8
        .value_kind:     global_buffer
      - .address_space:  global
        .offset:         16
        .size:           8
        .value_kind:     global_buffer
      - .offset:         24
        .size:           4
        .value_kind:     by_value
      - .offset:         28
        .size:           4
        .value_kind:     by_value
      - .offset:         32
        .size:           4
        .value_kind:     by_value
      - .offset:         36
        .size:           4
        .value_kind:     by_value
      - .address_space:  global
        .offset:         40
        .size:           8
        .value_kind:     global_buffer
      - .offset:         48
        .size:           4
        .value_kind:     by_value
      - .offset:         52
        .size:           4
        .value_kind:     by_value
      - .offset:         56
        .size:           4
        .value_kind:     by_value
      - .offset:         64
        .size:           8
        .value_kind:     by_value
    .group_segment_fixed_size: 0
    .kernarg_segment_align: 8
    .kernarg_segment_size: 72
    .language:       OpenCL C
    .language_version:
      - 2
      - 0
    .max_flat_workgroup_size: 1024
    .name:           _ZL12ssm_conv_f32ILb1ELm128ELm9EEvPKfS1_S1_iiiiPfiiil
    .private_segment_fixed_size: 0
    .sgpr_count:     88
    .sgpr_spill_count: 0
    .symbol:         _ZL12ssm_conv_f32ILb1ELm128ELm9EEvPKfS1_S1_iiiiPfiiil.kd
    .uniform_work_group_size: 1
    .uses_dynamic_stack: false
    .vgpr_count:     32
    .vgpr_spill_count: 0
    .wavefront_size: 64
  - .agpr_count:     0
    .args:
      - .actual_access:  read_only
        .address_space:  global
        .offset:         0
        .size:           8
        .value_kind:     global_buffer
      - .actual_access:  read_only
        .address_space:  global
        .offset:         8
        .size:           8
        .value_kind:     global_buffer
      - .actual_access:  read_only
        .address_space:  global
        .offset:         16
        .size:           8
        .value_kind:     global_buffer
      - .offset:         24
        .size:           4
        .value_kind:     by_value
      - .offset:         28
        .size:           4
        .value_kind:     by_value
      - .offset:         32
        .size:           4
        .value_kind:     by_value
      - .offset:         36
        .size:           4
        .value_kind:     by_value
      - .actual_access:  write_only
        .address_space:  global
        .offset:         40
        .size:           8
        .value_kind:     global_buffer
      - .offset:         48
        .size:           4
        .value_kind:     by_value
      - .offset:         52
        .size:           4
        .value_kind:     by_value
      - .offset:         56
        .size:           4
        .value_kind:     by_value
      - .offset:         64
        .size:           8
        .value_kind:     by_value
    .group_segment_fixed_size: 0
    .kernarg_segment_align: 8
    .kernarg_segment_size: 72
    .language:       OpenCL C
    .language_version:
      - 2
      - 0
    .max_flat_workgroup_size: 1024
    .name:           _ZL23ssm_conv_long_token_f32ILb1ELm128ELm9ELl32EEvPKfS1_S1_iiiiPfiiil
    .private_segment_fixed_size: 0
    .sgpr_count:     30
    .sgpr_spill_count: 0
    .symbol:         _ZL23ssm_conv_long_token_f32ILb1ELm128ELm9ELl32EEvPKfS1_S1_iiiiPfiiil.kd
    .uniform_work_group_size: 1
    .uses_dynamic_stack: false
    .vgpr_count:     54
    .vgpr_spill_count: 0
    .wavefront_size: 64
  - .agpr_count:     0
    .args:
      - .address_space:  global
        .offset:         0
        .size:           8
        .value_kind:     global_buffer
      - .address_space:  global
        .offset:         8
        .size:           8
        .value_kind:     global_buffer
      - .address_space:  global
        .offset:         16
        .size:           8
        .value_kind:     global_buffer
      - .offset:         24
        .size:           4
        .value_kind:     by_value
      - .offset:         28
        .size:           4
        .value_kind:     by_value
      - .offset:         32
        .size:           4
        .value_kind:     by_value
      - .offset:         36
        .size:           4
        .value_kind:     by_value
      - .address_space:  global
        .offset:         40
        .size:           8
        .value_kind:     global_buffer
      - .offset:         48
        .size:           4
        .value_kind:     by_value
      - .offset:         52
        .size:           4
        .value_kind:     by_value
      - .offset:         56
        .size:           4
        .value_kind:     by_value
      - .offset:         64
        .size:           8
        .value_kind:     by_value
    .group_segment_fixed_size: 0
    .kernarg_segment_align: 8
    .kernarg_segment_size: 72
    .language:       OpenCL C
    .language_version:
      - 2
      - 0
    .max_flat_workgroup_size: 1024
    .name:           _ZL12ssm_conv_f32ILb1ELm128ELm15EEvPKfS1_S1_iiiiPfiiil
    .private_segment_fixed_size: 0
    .sgpr_count:     90
    .sgpr_spill_count: 0
    .symbol:         _ZL12ssm_conv_f32ILb1ELm128ELm15EEvPKfS1_S1_iiiiPfiiil.kd
    .uniform_work_group_size: 1
    .uses_dynamic_stack: false
    .vgpr_count:     48
    .vgpr_spill_count: 0
    .wavefront_size: 64
  - .agpr_count:     0
    .args:
      - .actual_access:  read_only
        .address_space:  global
        .offset:         0
        .size:           8
        .value_kind:     global_buffer
      - .actual_access:  read_only
        .address_space:  global
        .offset:         8
        .size:           8
        .value_kind:     global_buffer
      - .actual_access:  read_only
        .address_space:  global
        .offset:         16
        .size:           8
        .value_kind:     global_buffer
      - .offset:         24
        .size:           4
        .value_kind:     by_value
      - .offset:         28
        .size:           4
        .value_kind:     by_value
      - .offset:         32
        .size:           4
        .value_kind:     by_value
      - .offset:         36
        .size:           4
        .value_kind:     by_value
      - .actual_access:  write_only
        .address_space:  global
        .offset:         40
        .size:           8
        .value_kind:     global_buffer
      - .offset:         48
        .size:           4
        .value_kind:     by_value
      - .offset:         52
        .size:           4
        .value_kind:     by_value
      - .offset:         56
        .size:           4
        .value_kind:     by_value
      - .offset:         64
        .size:           8
        .value_kind:     by_value
    .group_segment_fixed_size: 0
    .kernarg_segment_align: 8
    .kernarg_segment_size: 72
    .language:       OpenCL C
    .language_version:
      - 2
      - 0
    .max_flat_workgroup_size: 1024
    .name:           _ZL23ssm_conv_long_token_f32ILb1ELm128ELm15ELl32EEvPKfS1_S1_iiiiPfiiil
    .private_segment_fixed_size: 0
    .sgpr_count:     30
    .sgpr_spill_count: 0
    .symbol:         _ZL23ssm_conv_long_token_f32ILb1ELm128ELm15ELl32EEvPKfS1_S1_iiiiPfiiil.kd
    .uniform_work_group_size: 1
    .uses_dynamic_stack: false
    .vgpr_count:     64
    .vgpr_spill_count: 0
    .wavefront_size: 64
  - .agpr_count:     0
    .args:
      - .address_space:  global
        .offset:         0
        .size:           8
        .value_kind:     global_buffer
      - .address_space:  global
        .offset:         8
        .size:           8
        .value_kind:     global_buffer
      - .address_space:  global
        .offset:         16
        .size:           8
        .value_kind:     global_buffer
      - .offset:         24
        .size:           4
        .value_kind:     by_value
      - .offset:         28
        .size:           4
        .value_kind:     by_value
      - .offset:         32
        .size:           4
        .value_kind:     by_value
      - .offset:         36
        .size:           4
        .value_kind:     by_value
      - .address_space:  global
        .offset:         40
        .size:           8
        .value_kind:     global_buffer
      - .offset:         48
        .size:           4
        .value_kind:     by_value
      - .offset:         52
        .size:           4
        .value_kind:     by_value
      - .offset:         56
        .size:           4
        .value_kind:     by_value
      - .offset:         64
        .size:           8
        .value_kind:     by_value
    .group_segment_fixed_size: 0
    .kernarg_segment_align: 8
    .kernarg_segment_size: 72
    .language:       OpenCL C
    .language_version:
      - 2
      - 0
    .max_flat_workgroup_size: 1024
    .name:           _ZL12ssm_conv_f32ILb0ELm128ELm3EEvPKfS1_S1_iiiiPfiiil
    .private_segment_fixed_size: 0
    .sgpr_count:     47
    .sgpr_spill_count: 0
    .symbol:         _ZL12ssm_conv_f32ILb0ELm128ELm3EEvPKfS1_S1_iiiiPfiiil.kd
    .uniform_work_group_size: 1
    .uses_dynamic_stack: false
    .vgpr_count:     14
    .vgpr_spill_count: 0
    .wavefront_size: 64
  - .agpr_count:     0
    .args:
      - .actual_access:  read_only
        .address_space:  global
        .offset:         0
        .size:           8
        .value_kind:     global_buffer
      - .actual_access:  read_only
        .address_space:  global
        .offset:         8
        .size:           8
        .value_kind:     global_buffer
      - .actual_access:  read_only
        .address_space:  global
        .offset:         16
        .size:           8
        .value_kind:     global_buffer
      - .offset:         24
        .size:           4
        .value_kind:     by_value
      - .offset:         28
        .size:           4
        .value_kind:     by_value
      - .offset:         32
        .size:           4
        .value_kind:     by_value
      - .offset:         36
        .size:           4
        .value_kind:     by_value
      - .actual_access:  write_only
        .address_space:  global
        .offset:         40
        .size:           8
        .value_kind:     global_buffer
      - .offset:         48
        .size:           4
        .value_kind:     by_value
      - .offset:         52
        .size:           4
        .value_kind:     by_value
      - .offset:         56
        .size:           4
        .value_kind:     by_value
      - .offset:         64
        .size:           8
        .value_kind:     by_value
    .group_segment_fixed_size: 0
    .kernarg_segment_align: 8
    .kernarg_segment_size: 72
    .language:       OpenCL C
    .language_version:
      - 2
      - 0
    .max_flat_workgroup_size: 1024
    .name:           _ZL23ssm_conv_long_token_f32ILb0ELm128ELm3ELl32EEvPKfS1_S1_iiiiPfiiil
    .private_segment_fixed_size: 0
    .sgpr_count:     30
    .sgpr_spill_count: 0
    .symbol:         _ZL23ssm_conv_long_token_f32ILb0ELm128ELm3ELl32EEvPKfS1_S1_iiiiPfiiil.kd
    .uniform_work_group_size: 1
    .uses_dynamic_stack: false
    .vgpr_count:     50
    .vgpr_spill_count: 0
    .wavefront_size: 64
  - .agpr_count:     0
    .args:
      - .address_space:  global
        .offset:         0
        .size:           8
        .value_kind:     global_buffer
      - .address_space:  global
        .offset:         8
        .size:           8
        .value_kind:     global_buffer
      - .address_space:  global
        .offset:         16
        .size:           8
        .value_kind:     global_buffer
      - .offset:         24
        .size:           4
        .value_kind:     by_value
      - .offset:         28
        .size:           4
        .value_kind:     by_value
      - .offset:         32
        .size:           4
        .value_kind:     by_value
      - .offset:         36
        .size:           4
        .value_kind:     by_value
      - .address_space:  global
        .offset:         40
        .size:           8
        .value_kind:     global_buffer
      - .offset:         48
        .size:           4
        .value_kind:     by_value
      - .offset:         52
        .size:           4
        .value_kind:     by_value
      - .offset:         56
        .size:           4
        .value_kind:     by_value
      - .offset:         64
        .size:           8
        .value_kind:     by_value
    .group_segment_fixed_size: 0
    .kernarg_segment_align: 8
    .kernarg_segment_size: 72
    .language:       OpenCL C
    .language_version:
      - 2
      - 0
    .max_flat_workgroup_size: 1024
    .name:           _ZL12ssm_conv_f32ILb0ELm128ELm4EEvPKfS1_S1_iiiiPfiiil
    .private_segment_fixed_size: 0
    .sgpr_count:     27
    .sgpr_spill_count: 0
    .symbol:         _ZL12ssm_conv_f32ILb0ELm128ELm4EEvPKfS1_S1_iiiiPfiiil.kd
    .uniform_work_group_size: 1
    .uses_dynamic_stack: false
    .vgpr_count:     18
    .vgpr_spill_count: 0
    .wavefront_size: 64
  - .agpr_count:     0
    .args:
      - .actual_access:  read_only
        .address_space:  global
        .offset:         0
        .size:           8
        .value_kind:     global_buffer
      - .actual_access:  read_only
        .address_space:  global
        .offset:         8
        .size:           8
        .value_kind:     global_buffer
      - .actual_access:  read_only
        .address_space:  global
        .offset:         16
        .size:           8
        .value_kind:     global_buffer
      - .offset:         24
        .size:           4
        .value_kind:     by_value
      - .offset:         28
        .size:           4
        .value_kind:     by_value
      - .offset:         32
        .size:           4
        .value_kind:     by_value
      - .offset:         36
        .size:           4
        .value_kind:     by_value
      - .actual_access:  write_only
        .address_space:  global
        .offset:         40
        .size:           8
        .value_kind:     global_buffer
      - .offset:         48
        .size:           4
        .value_kind:     by_value
      - .offset:         52
        .size:           4
        .value_kind:     by_value
      - .offset:         56
        .size:           4
        .value_kind:     by_value
      - .offset:         64
        .size:           8
        .value_kind:     by_value
    .group_segment_fixed_size: 0
    .kernarg_segment_align: 8
    .kernarg_segment_size: 72
    .language:       OpenCL C
    .language_version:
      - 2
      - 0
    .max_flat_workgroup_size: 1024
    .name:           _ZL23ssm_conv_long_token_f32ILb0ELm128ELm4ELl32EEvPKfS1_S1_iiiiPfiiil
    .private_segment_fixed_size: 0
    .sgpr_count:     30
    .sgpr_spill_count: 0
    .symbol:         _ZL23ssm_conv_long_token_f32ILb0ELm128ELm4ELl32EEvPKfS1_S1_iiiiPfiiil.kd
    .uniform_work_group_size: 1
    .uses_dynamic_stack: false
    .vgpr_count:     50
    .vgpr_spill_count: 0
    .wavefront_size: 64
  - .agpr_count:     0
    .args:
      - .address_space:  global
        .offset:         0
        .size:           8
        .value_kind:     global_buffer
      - .address_space:  global
        .offset:         8
        .size:           8
        .value_kind:     global_buffer
      - .address_space:  global
        .offset:         16
        .size:           8
        .value_kind:     global_buffer
      - .offset:         24
        .size:           4
        .value_kind:     by_value
      - .offset:         28
        .size:           4
        .value_kind:     by_value
      - .offset:         32
        .size:           4
        .value_kind:     by_value
      - .offset:         36
        .size:           4
        .value_kind:     by_value
      - .address_space:  global
        .offset:         40
        .size:           8
        .value_kind:     global_buffer
      - .offset:         48
        .size:           4
        .value_kind:     by_value
      - .offset:         52
        .size:           4
        .value_kind:     by_value
      - .offset:         56
        .size:           4
        .value_kind:     by_value
      - .offset:         64
        .size:           8
        .value_kind:     by_value
    .group_segment_fixed_size: 0
    .kernarg_segment_align: 8
    .kernarg_segment_size: 72
    .language:       OpenCL C
    .language_version:
      - 2
      - 0
    .max_flat_workgroup_size: 1024
    .name:           _ZL12ssm_conv_f32ILb0ELm128ELm5EEvPKfS1_S1_iiiiPfiiil
    .private_segment_fixed_size: 0
    .sgpr_count:     66
    .sgpr_spill_count: 0
    .symbol:         _ZL12ssm_conv_f32ILb0ELm128ELm5EEvPKfS1_S1_iiiiPfiiil.kd
    .uniform_work_group_size: 1
    .uses_dynamic_stack: false
    .vgpr_count:     22
    .vgpr_spill_count: 0
    .wavefront_size: 64
  - .agpr_count:     0
    .args:
      - .actual_access:  read_only
        .address_space:  global
        .offset:         0
        .size:           8
        .value_kind:     global_buffer
      - .actual_access:  read_only
        .address_space:  global
        .offset:         8
        .size:           8
        .value_kind:     global_buffer
      - .actual_access:  read_only
        .address_space:  global
        .offset:         16
        .size:           8
        .value_kind:     global_buffer
      - .offset:         24
        .size:           4
        .value_kind:     by_value
      - .offset:         28
        .size:           4
        .value_kind:     by_value
      - .offset:         32
        .size:           4
        .value_kind:     by_value
      - .offset:         36
        .size:           4
        .value_kind:     by_value
      - .actual_access:  write_only
        .address_space:  global
        .offset:         40
        .size:           8
        .value_kind:     global_buffer
      - .offset:         48
        .size:           4
        .value_kind:     by_value
      - .offset:         52
        .size:           4
        .value_kind:     by_value
      - .offset:         56
        .size:           4
        .value_kind:     by_value
      - .offset:         64
        .size:           8
        .value_kind:     by_value
    .group_segment_fixed_size: 0
    .kernarg_segment_align: 8
    .kernarg_segment_size: 72
    .language:       OpenCL C
    .language_version:
      - 2
      - 0
    .max_flat_workgroup_size: 1024
    .name:           _ZL23ssm_conv_long_token_f32ILb0ELm128ELm5ELl32EEvPKfS1_S1_iiiiPfiiil
    .private_segment_fixed_size: 0
    .sgpr_count:     30
    .sgpr_spill_count: 0
    .symbol:         _ZL23ssm_conv_long_token_f32ILb0ELm128ELm5ELl32EEvPKfS1_S1_iiiiPfiiil.kd
    .uniform_work_group_size: 1
    .uses_dynamic_stack: false
    .vgpr_count:     50
    .vgpr_spill_count: 0
    .wavefront_size: 64
  - .agpr_count:     0
    .args:
      - .address_space:  global
        .offset:         0
        .size:           8
        .value_kind:     global_buffer
      - .address_space:  global
        .offset:         8
        .size:           8
        .value_kind:     global_buffer
      - .address_space:  global
        .offset:         16
        .size:           8
        .value_kind:     global_buffer
      - .offset:         24
        .size:           4
        .value_kind:     by_value
      - .offset:         28
        .size:           4
        .value_kind:     by_value
      - .offset:         32
        .size:           4
        .value_kind:     by_value
      - .offset:         36
        .size:           4
        .value_kind:     by_value
      - .address_space:  global
        .offset:         40
        .size:           8
        .value_kind:     global_buffer
      - .offset:         48
        .size:           4
        .value_kind:     by_value
      - .offset:         52
        .size:           4
        .value_kind:     by_value
      - .offset:         56
        .size:           4
        .value_kind:     by_value
      - .offset:         64
        .size:           8
        .value_kind:     by_value
    .group_segment_fixed_size: 0
    .kernarg_segment_align: 8
    .kernarg_segment_size: 72
    .language:       OpenCL C
    .language_version:
      - 2
      - 0
    .max_flat_workgroup_size: 1024
    .name:           _ZL12ssm_conv_f32ILb0ELm128ELm9EEvPKfS1_S1_iiiiPfiiil
    .private_segment_fixed_size: 0
    .sgpr_count:     87
    .sgpr_spill_count: 0
    .symbol:         _ZL12ssm_conv_f32ILb0ELm128ELm9EEvPKfS1_S1_iiiiPfiiil.kd
    .uniform_work_group_size: 1
    .uses_dynamic_stack: false
    .vgpr_count:     32
    .vgpr_spill_count: 0
    .wavefront_size: 64
  - .agpr_count:     0
    .args:
      - .actual_access:  read_only
        .address_space:  global
        .offset:         0
        .size:           8
        .value_kind:     global_buffer
      - .actual_access:  read_only
        .address_space:  global
        .offset:         8
        .size:           8
        .value_kind:     global_buffer
      - .actual_access:  read_only
        .address_space:  global
        .offset:         16
        .size:           8
        .value_kind:     global_buffer
      - .offset:         24
        .size:           4
        .value_kind:     by_value
      - .offset:         28
        .size:           4
        .value_kind:     by_value
      - .offset:         32
        .size:           4
        .value_kind:     by_value
      - .offset:         36
        .size:           4
        .value_kind:     by_value
      - .actual_access:  write_only
        .address_space:  global
        .offset:         40
        .size:           8
        .value_kind:     global_buffer
      - .offset:         48
        .size:           4
        .value_kind:     by_value
      - .offset:         52
        .size:           4
        .value_kind:     by_value
      - .offset:         56
        .size:           4
        .value_kind:     by_value
      - .offset:         64
        .size:           8
        .value_kind:     by_value
    .group_segment_fixed_size: 0
    .kernarg_segment_align: 8
    .kernarg_segment_size: 72
    .language:       OpenCL C
    .language_version:
      - 2
      - 0
    .max_flat_workgroup_size: 1024
    .name:           _ZL23ssm_conv_long_token_f32ILb0ELm128ELm9ELl32EEvPKfS1_S1_iiiiPfiiil
    .private_segment_fixed_size: 0
    .sgpr_count:     30
    .sgpr_spill_count: 0
    .symbol:         _ZL23ssm_conv_long_token_f32ILb0ELm128ELm9ELl32EEvPKfS1_S1_iiiiPfiiil.kd
    .uniform_work_group_size: 1
    .uses_dynamic_stack: false
    .vgpr_count:     54
    .vgpr_spill_count: 0
    .wavefront_size: 64
  - .agpr_count:     0
    .args:
      - .address_space:  global
        .offset:         0
        .size:           8
        .value_kind:     global_buffer
      - .address_space:  global
        .offset:         8
        .size:           8
        .value_kind:     global_buffer
      - .address_space:  global
        .offset:         16
        .size:           8
        .value_kind:     global_buffer
      - .offset:         24
        .size:           4
        .value_kind:     by_value
      - .offset:         28
        .size:           4
        .value_kind:     by_value
      - .offset:         32
        .size:           4
        .value_kind:     by_value
      - .offset:         36
        .size:           4
        .value_kind:     by_value
      - .address_space:  global
        .offset:         40
        .size:           8
        .value_kind:     global_buffer
      - .offset:         48
        .size:           4
        .value_kind:     by_value
      - .offset:         52
        .size:           4
        .value_kind:     by_value
      - .offset:         56
        .size:           4
        .value_kind:     by_value
      - .offset:         64
        .size:           8
        .value_kind:     by_value
    .group_segment_fixed_size: 0
    .kernarg_segment_align: 8
    .kernarg_segment_size: 72
    .language:       OpenCL C
    .language_version:
      - 2
      - 0
    .max_flat_workgroup_size: 1024
    .name:           _ZL12ssm_conv_f32ILb0ELm128ELm15EEvPKfS1_S1_iiiiPfiiil
    .private_segment_fixed_size: 0
    .sgpr_count:     90
    .sgpr_spill_count: 0
    .symbol:         _ZL12ssm_conv_f32ILb0ELm128ELm15EEvPKfS1_S1_iiiiPfiiil.kd
    .uniform_work_group_size: 1
    .uses_dynamic_stack: false
    .vgpr_count:     50
    .vgpr_spill_count: 0
    .wavefront_size: 64
  - .agpr_count:     0
    .args:
      - .actual_access:  read_only
        .address_space:  global
        .offset:         0
        .size:           8
        .value_kind:     global_buffer
      - .actual_access:  read_only
        .address_space:  global
        .offset:         8
        .size:           8
        .value_kind:     global_buffer
      - .actual_access:  read_only
        .address_space:  global
        .offset:         16
        .size:           8
        .value_kind:     global_buffer
      - .offset:         24
        .size:           4
        .value_kind:     by_value
      - .offset:         28
        .size:           4
        .value_kind:     by_value
      - .offset:         32
        .size:           4
        .value_kind:     by_value
      - .offset:         36
        .size:           4
        .value_kind:     by_value
      - .actual_access:  write_only
        .address_space:  global
        .offset:         40
        .size:           8
        .value_kind:     global_buffer
      - .offset:         48
        .size:           4
        .value_kind:     by_value
      - .offset:         52
        .size:           4
        .value_kind:     by_value
      - .offset:         56
        .size:           4
        .value_kind:     by_value
      - .offset:         64
        .size:           8
        .value_kind:     by_value
    .group_segment_fixed_size: 0
    .kernarg_segment_align: 8
    .kernarg_segment_size: 72
    .language:       OpenCL C
    .language_version:
      - 2
      - 0
    .max_flat_workgroup_size: 1024
    .name:           _ZL23ssm_conv_long_token_f32ILb0ELm128ELm15ELl32EEvPKfS1_S1_iiiiPfiiil
    .private_segment_fixed_size: 0
    .sgpr_count:     30
    .sgpr_spill_count: 0
    .symbol:         _ZL23ssm_conv_long_token_f32ILb0ELm128ELm15ELl32EEvPKfS1_S1_iiiiPfiiil.kd
    .uniform_work_group_size: 1
    .uses_dynamic_stack: false
    .vgpr_count:     60
    .vgpr_spill_count: 0
    .wavefront_size: 64
amdhsa.target:   amdgcn-amd-amdhsa--gfx950
amdhsa.version:
  - 1
  - 2
...

	.end_amdgpu_metadata
